;; amdgpu-corpus repo=ROCm/rocFFT kind=compiled arch=gfx1201 opt=O3
	.text
	.amdgcn_target "amdgcn-amd-amdhsa--gfx1201"
	.amdhsa_code_object_version 6
	.protected	fft_rtc_fwd_len208_factors_13_16_wgs_144_tpt_16_sp_op_CI_CI_sbcc_twdbase8_2step_dirReg_intrinsicReadWrite ; -- Begin function fft_rtc_fwd_len208_factors_13_16_wgs_144_tpt_16_sp_op_CI_CI_sbcc_twdbase8_2step_dirReg_intrinsicReadWrite
	.globl	fft_rtc_fwd_len208_factors_13_16_wgs_144_tpt_16_sp_op_CI_CI_sbcc_twdbase8_2step_dirReg_intrinsicReadWrite
	.p2align	8
	.type	fft_rtc_fwd_len208_factors_13_16_wgs_144_tpt_16_sp_op_CI_CI_sbcc_twdbase8_2step_dirReg_intrinsicReadWrite,@function
fft_rtc_fwd_len208_factors_13_16_wgs_144_tpt_16_sp_op_CI_CI_sbcc_twdbase8_2step_dirReg_intrinsicReadWrite: ; @fft_rtc_fwd_len208_factors_13_16_wgs_144_tpt_16_sp_op_CI_CI_sbcc_twdbase8_2step_dirReg_intrinsicReadWrite
; %bb.0:
	s_clause 0x1
	s_load_b128 s[20:23], s[0:1], 0x18
	s_load_b64 s[28:29], s[0:1], 0x28
	s_mov_b32 s35, 0
	s_mov_b32 s2, 0x71c4fc00
	s_movk_i32 s3, 0x7c
	s_mov_b32 s34, s35
	s_mov_b64 s[24:25], 0
	s_add_nc_u64 s[2:3], s[34:35], s[2:3]
	s_delay_alu instid0(SALU_CYCLE_1) | instskip(NEXT) | instid1(SALU_CYCLE_1)
	s_add_co_i32 s3, s3, 0x1c71c6a0
	s_mul_u64 s[4:5], s[2:3], -9
	s_delay_alu instid0(SALU_CYCLE_1)
	s_mul_hi_u32 s7, s2, s5
	s_mul_i32 s6, s2, s5
	s_mul_hi_u32 s34, s2, s4
	s_mul_i32 s9, s3, s4
	s_add_nc_u64 s[6:7], s[34:35], s[6:7]
	s_mul_hi_u32 s8, s3, s4
	s_mul_hi_u32 s10, s3, s5
	s_wait_kmcnt 0x0
	s_load_b64 s[30:31], s[20:21], 0x8
	s_mul_i32 s4, s3, s5
	s_add_co_u32 s5, s6, s9
	s_add_co_ci_u32 s34, s7, s8
	s_add_co_ci_u32 s5, s10, 0
	s_delay_alu instid0(SALU_CYCLE_1) | instskip(NEXT) | instid1(SALU_CYCLE_1)
	s_add_nc_u64 s[4:5], s[34:35], s[4:5]
	v_add_co_u32 v1, s2, s2, s4
	s_delay_alu instid0(VALU_DEP_1) | instskip(SKIP_1) | instid1(VALU_DEP_1)
	s_cmp_lg_u32 s2, 0
	s_add_co_ci_u32 s6, s3, s5
	v_readfirstlane_b32 s7, v1
	s_wait_kmcnt 0x0
	s_add_nc_u64 s[2:3], s[30:31], -1
	s_wait_alu 0xfffe
	s_mul_hi_u32 s5, s2, s6
	s_mul_i32 s4, s2, s6
	s_mul_hi_u32 s34, s2, s7
	s_mul_hi_u32 s9, s3, s7
	s_mul_i32 s7, s3, s7
	s_wait_alu 0xfffe
	s_add_nc_u64 s[4:5], s[34:35], s[4:5]
	s_mul_hi_u32 s8, s3, s6
	s_wait_alu 0xfffe
	s_add_co_u32 s4, s4, s7
	s_add_co_ci_u32 s34, s5, s9
	s_mul_i32 s6, s3, s6
	s_add_co_ci_u32 s7, s8, 0
	s_delay_alu instid0(SALU_CYCLE_1) | instskip(SKIP_3) | instid1(SALU_CYCLE_1)
	s_add_nc_u64 s[4:5], s[34:35], s[6:7]
	s_mov_b32 s34, ttmp9
	s_wait_alu 0xfffe
	s_mul_u64 s[6:7], s[4:5], 9
	v_sub_co_u32 v1, s2, s2, s6
	s_delay_alu instid0(VALU_DEP_1) | instskip(SKIP_1) | instid1(VALU_DEP_1)
	s_cmp_lg_u32 s2, 0
	s_sub_co_ci_u32 s8, s3, s7
	v_sub_co_u32 v2, s6, v1, 9
	s_delay_alu instid0(VALU_DEP_1) | instskip(SKIP_2) | instid1(VALU_DEP_2)
	s_cmp_lg_u32 s6, 0
	v_readfirstlane_b32 s10, v1
	s_sub_co_ci_u32 s6, s8, 0
	v_readfirstlane_b32 s2, v2
	s_delay_alu instid0(VALU_DEP_1)
	s_cmp_gt_u32 s2, 8
	s_add_nc_u64 s[2:3], s[4:5], 1
	s_cselect_b32 s9, -1, 0
	s_wait_alu 0xfffe
	s_cmp_eq_u32 s6, 0
	s_add_nc_u64 s[6:7], s[4:5], 2
	s_cselect_b32 s9, s9, -1
	s_delay_alu instid0(SALU_CYCLE_1)
	s_cmp_lg_u32 s9, 0
	s_wait_alu 0xfffe
	s_cselect_b32 s2, s6, s2
	s_cselect_b32 s3, s7, s3
	s_cmp_gt_u32 s10, 8
	s_cselect_b32 s6, -1, 0
	s_cmp_eq_u32 s8, 0
	s_wait_alu 0xfffe
	s_cselect_b32 s6, s6, -1
	s_wait_alu 0xfffe
	s_cmp_lg_u32 s6, 0
	s_cselect_b32 s3, s3, s5
	s_cselect_b32 s2, s2, s4
	s_wait_alu 0xfffe
	s_add_nc_u64 s[36:37], s[2:3], 1
	s_delay_alu instid0(SALU_CYCLE_1) | instskip(NEXT) | instid1(VALU_DEP_1)
	v_cmp_lt_u64_e64 s2, s[34:35], s[36:37]
	s_and_b32 vcc_lo, exec_lo, s2
	s_cbranch_vccnz .LBB0_2
; %bb.1:
	v_cvt_f32_u32_e32 v1, s36
	s_sub_co_i32 s3, 0, s36
	s_mov_b32 s25, s35
	s_delay_alu instid0(VALU_DEP_1) | instskip(NEXT) | instid1(TRANS32_DEP_1)
	v_rcp_iflag_f32_e32 v1, v1
	v_mul_f32_e32 v1, 0x4f7ffffe, v1
	s_delay_alu instid0(VALU_DEP_1) | instskip(NEXT) | instid1(VALU_DEP_1)
	v_cvt_u32_f32_e32 v1, v1
	v_readfirstlane_b32 s2, v1
	s_wait_alu 0xfffe
	s_delay_alu instid0(VALU_DEP_1)
	s_mul_i32 s3, s3, s2
	s_wait_alu 0xfffe
	s_mul_hi_u32 s3, s2, s3
	s_wait_alu 0xfffe
	s_add_co_i32 s2, s2, s3
	s_wait_alu 0xfffe
	s_mul_hi_u32 s2, s34, s2
	s_wait_alu 0xfffe
	s_mul_i32 s3, s2, s36
	s_add_co_i32 s4, s2, 1
	s_wait_alu 0xfffe
	s_sub_co_i32 s3, s34, s3
	s_wait_alu 0xfffe
	s_sub_co_i32 s5, s3, s36
	s_cmp_ge_u32 s3, s36
	s_cselect_b32 s2, s4, s2
	s_wait_alu 0xfffe
	s_cselect_b32 s3, s5, s3
	s_add_co_i32 s4, s2, 1
	s_wait_alu 0xfffe
	s_cmp_ge_u32 s3, s36
	s_cselect_b32 s24, s4, s2
.LBB0_2:
	s_load_b128 s[12:15], s[0:1], 0x8
	s_load_b128 s[16:19], s[22:23], 0x0
	;; [unrolled: 1-line block ×3, first 2 shown]
	s_clause 0x1
	s_load_b64 s[26:27], s[0:1], 0x0
	s_load_b128 s[4:7], s[0:1], 0x60
	s_mul_u64 s[0:1], s[24:25], s[36:37]
	s_delay_alu instid0(SALU_CYCLE_1) | instskip(NEXT) | instid1(SALU_CYCLE_1)
	s_sub_nc_u64 s[0:1], s[34:35], s[0:1]
	s_mul_u64 s[38:39], s[0:1], 9
	s_wait_kmcnt 0x0
	v_cmp_lt_u64_e64 s2, s[14:15], 3
	s_mul_u64 s[0:1], s[18:19], s[38:39]
	s_delay_alu instid0(VALU_DEP_1)
	s_and_b32 vcc_lo, exec_lo, s2
	s_mul_u64 s[2:3], s[10:11], s[38:39]
	s_cbranch_vccnz .LBB0_12
; %bb.3:
	s_add_nc_u64 s[40:41], s[28:29], 16
	s_add_nc_u64 s[42:43], s[22:23], 16
	;; [unrolled: 1-line block ×3, first 2 shown]
	s_mov_b64 s[44:45], 2
	s_mov_b32 s46, 0
.LBB0_4:                                ; =>This Inner Loop Header: Depth=1
	s_load_b64 s[48:49], s[20:21], 0x0
                                        ; implicit-def: $sgpr52_sgpr53
	s_wait_kmcnt 0x0
	s_or_b64 s[50:51], s[24:25], s[48:49]
	s_delay_alu instid0(SALU_CYCLE_1)
	s_mov_b32 s47, s51
	s_mov_b32 s51, -1
	s_cmp_lg_u64 s[46:47], 0
	s_cbranch_scc0 .LBB0_6
; %bb.5:                                ;   in Loop: Header=BB0_4 Depth=1
	s_cvt_f32_u32 s9, s48
	s_cvt_f32_u32 s11, s49
	s_sub_nc_u64 s[54:55], 0, s[48:49]
	s_mov_b32 s51, 0
	s_mov_b32 s59, s46
	s_wait_alu 0xfffe
	s_fmamk_f32 s9, s11, 0x4f800000, s9
	s_wait_alu 0xfffe
	s_delay_alu instid0(SALU_CYCLE_2) | instskip(NEXT) | instid1(TRANS32_DEP_1)
	v_s_rcp_f32 s9, s9
	s_mul_f32 s9, s9, 0x5f7ffffc
	s_wait_alu 0xfffe
	s_delay_alu instid0(SALU_CYCLE_2) | instskip(NEXT) | instid1(SALU_CYCLE_3)
	s_mul_f32 s11, s9, 0x2f800000
	s_trunc_f32 s11, s11
	s_delay_alu instid0(SALU_CYCLE_3) | instskip(SKIP_2) | instid1(SALU_CYCLE_1)
	s_fmamk_f32 s9, s11, 0xcf800000, s9
	s_cvt_u32_f32 s53, s11
	s_wait_alu 0xfffe
	s_cvt_u32_f32 s52, s9
	s_wait_alu 0xfffe
	s_delay_alu instid0(SALU_CYCLE_2)
	s_mul_u64 s[56:57], s[54:55], s[52:53]
	s_wait_alu 0xfffe
	s_mul_hi_u32 s61, s52, s57
	s_mul_i32 s60, s52, s57
	s_mul_hi_u32 s50, s52, s56
	s_mul_i32 s11, s53, s56
	s_add_nc_u64 s[60:61], s[50:51], s[60:61]
	s_mul_hi_u32 s9, s53, s56
	s_mul_hi_u32 s17, s53, s57
	s_add_co_u32 s11, s60, s11
	s_wait_alu 0xfffe
	s_add_co_ci_u32 s58, s61, s9
	s_mul_i32 s56, s53, s57
	s_add_co_ci_u32 s57, s17, 0
	s_wait_alu 0xfffe
	s_add_nc_u64 s[56:57], s[58:59], s[56:57]
	s_wait_alu 0xfffe
	v_add_co_u32 v1, s9, s52, s56
	s_delay_alu instid0(VALU_DEP_1) | instskip(SKIP_1) | instid1(VALU_DEP_1)
	s_cmp_lg_u32 s9, 0
	s_add_co_ci_u32 s53, s53, s57
	v_readfirstlane_b32 s52, v1
	s_mov_b32 s57, s46
	s_wait_alu 0xfffe
	s_delay_alu instid0(VALU_DEP_1)
	s_mul_u64 s[54:55], s[54:55], s[52:53]
	s_wait_alu 0xfffe
	s_mul_hi_u32 s59, s52, s55
	s_mul_i32 s58, s52, s55
	s_mul_hi_u32 s50, s52, s54
	s_mul_i32 s11, s53, s54
	s_add_nc_u64 s[58:59], s[50:51], s[58:59]
	s_mul_hi_u32 s9, s53, s54
	s_mul_hi_u32 s17, s53, s55
	s_add_co_u32 s11, s58, s11
	s_wait_alu 0xfffe
	s_add_co_ci_u32 s56, s59, s9
	s_mul_i32 s54, s53, s55
	s_add_co_ci_u32 s55, s17, 0
	s_wait_alu 0xfffe
	s_add_nc_u64 s[54:55], s[56:57], s[54:55]
	s_wait_alu 0xfffe
	v_add_co_u32 v1, s9, v1, s54
	s_delay_alu instid0(VALU_DEP_1) | instskip(SKIP_1) | instid1(VALU_DEP_1)
	s_cmp_lg_u32 s9, 0
	s_add_co_ci_u32 s9, s53, s55
	v_readfirstlane_b32 s11, v1
	s_wait_alu 0xfffe
	s_mul_hi_u32 s53, s24, s9
	s_mul_i32 s52, s24, s9
	s_mul_hi_u32 s17, s25, s9
	s_mul_i32 s54, s25, s9
	;; [unrolled: 2-line block ×3, first 2 shown]
	s_wait_alu 0xfffe
	s_add_nc_u64 s[52:53], s[50:51], s[52:53]
	s_mul_hi_u32 s11, s25, s11
	s_wait_alu 0xfffe
	s_add_co_u32 s9, s52, s9
	s_add_co_ci_u32 s56, s53, s11
	s_add_co_ci_u32 s55, s17, 0
	s_wait_alu 0xfffe
	s_add_nc_u64 s[52:53], s[56:57], s[54:55]
	s_wait_alu 0xfffe
	s_mul_u64 s[54:55], s[48:49], s[52:53]
	s_add_nc_u64 s[56:57], s[52:53], 1
	s_wait_alu 0xfffe
	v_sub_co_u32 v1, s9, s24, s54
	s_sub_co_i32 s11, s25, s55
	s_cmp_lg_u32 s9, 0
	s_add_nc_u64 s[58:59], s[52:53], 2
	s_delay_alu instid0(VALU_DEP_1) | instskip(SKIP_2) | instid1(VALU_DEP_1)
	v_sub_co_u32 v2, s17, v1, s48
	s_sub_co_ci_u32 s11, s11, s49
	s_cmp_lg_u32 s17, 0
	v_readfirstlane_b32 s17, v2
	s_sub_co_ci_u32 s11, s11, 0
	s_delay_alu instid0(SALU_CYCLE_1) | instskip(SKIP_1) | instid1(VALU_DEP_1)
	s_cmp_ge_u32 s11, s49
	s_cselect_b32 s33, -1, 0
	s_cmp_ge_u32 s17, s48
	s_cselect_b32 s17, -1, 0
	s_cmp_eq_u32 s11, s49
	s_cselect_b32 s11, s17, s33
	s_delay_alu instid0(SALU_CYCLE_1)
	s_cmp_lg_u32 s11, 0
	s_cselect_b32 s11, s58, s56
	s_cselect_b32 s17, s59, s57
	s_cmp_lg_u32 s9, 0
	v_readfirstlane_b32 s9, v1
	s_sub_co_ci_u32 s33, s25, s55
	s_delay_alu instid0(SALU_CYCLE_1) | instskip(SKIP_1) | instid1(VALU_DEP_1)
	s_cmp_ge_u32 s33, s49
	s_cselect_b32 s47, -1, 0
	s_cmp_ge_u32 s9, s48
	s_cselect_b32 s9, -1, 0
	s_cmp_eq_u32 s33, s49
	s_wait_alu 0xfffe
	s_cselect_b32 s9, s9, s47
	s_wait_alu 0xfffe
	s_cmp_lg_u32 s9, 0
	s_cselect_b32 s53, s17, s53
	s_cselect_b32 s52, s11, s52
.LBB0_6:                                ;   in Loop: Header=BB0_4 Depth=1
	s_and_not1_b32 vcc_lo, exec_lo, s51
	s_cbranch_vccnz .LBB0_8
; %bb.7:                                ;   in Loop: Header=BB0_4 Depth=1
	v_cvt_f32_u32_e32 v1, s48
	s_sub_co_i32 s11, 0, s48
	s_mov_b32 s53, s46
	s_delay_alu instid0(VALU_DEP_1) | instskip(NEXT) | instid1(TRANS32_DEP_1)
	v_rcp_iflag_f32_e32 v1, v1
	v_mul_f32_e32 v1, 0x4f7ffffe, v1
	s_delay_alu instid0(VALU_DEP_1) | instskip(NEXT) | instid1(VALU_DEP_1)
	v_cvt_u32_f32_e32 v1, v1
	v_readfirstlane_b32 s9, v1
	s_delay_alu instid0(VALU_DEP_1) | instskip(NEXT) | instid1(SALU_CYCLE_1)
	s_mul_i32 s11, s11, s9
	s_mul_hi_u32 s11, s9, s11
	s_delay_alu instid0(SALU_CYCLE_1)
	s_add_co_i32 s9, s9, s11
	s_wait_alu 0xfffe
	s_mul_hi_u32 s9, s24, s9
	s_wait_alu 0xfffe
	s_mul_i32 s11, s9, s48
	s_add_co_i32 s17, s9, 1
	s_sub_co_i32 s11, s24, s11
	s_delay_alu instid0(SALU_CYCLE_1)
	s_sub_co_i32 s33, s11, s48
	s_cmp_ge_u32 s11, s48
	s_cselect_b32 s9, s17, s9
	s_cselect_b32 s11, s33, s11
	s_wait_alu 0xfffe
	s_add_co_i32 s17, s9, 1
	s_cmp_ge_u32 s11, s48
	s_cselect_b32 s52, s17, s9
.LBB0_8:                                ;   in Loop: Header=BB0_4 Depth=1
	s_load_b64 s[50:51], s[42:43], 0x0
	s_load_b64 s[54:55], s[40:41], 0x0
	s_add_nc_u64 s[44:45], s[44:45], 1
	s_mul_u64 s[36:37], s[48:49], s[36:37]
	s_wait_alu 0xfffe
	v_cmp_ge_u64_e64 s9, s[44:45], s[14:15]
	s_mul_u64 s[48:49], s[52:53], s[48:49]
	s_add_nc_u64 s[40:41], s[40:41], 8
	s_wait_alu 0xfffe
	s_sub_nc_u64 s[24:25], s[24:25], s[48:49]
	s_add_nc_u64 s[42:43], s[42:43], 8
	s_add_nc_u64 s[20:21], s[20:21], 8
	s_and_b32 vcc_lo, exec_lo, s9
	s_wait_kmcnt 0x0
	s_wait_alu 0xfffe
	s_mul_u64 s[48:49], s[50:51], s[24:25]
	s_mul_u64 s[24:25], s[54:55], s[24:25]
	s_wait_alu 0xfffe
	s_add_nc_u64 s[0:1], s[48:49], s[0:1]
	s_add_nc_u64 s[2:3], s[24:25], s[2:3]
	s_cbranch_vccnz .LBB0_10
; %bb.9:                                ;   in Loop: Header=BB0_4 Depth=1
	s_mov_b64 s[24:25], s[52:53]
	s_branch .LBB0_4
.LBB0_10:
	v_cmp_lt_u64_e64 s3, s[34:35], s[36:37]
	s_mov_b64 s[24:25], 0
	s_wait_alu 0xfffe
	s_delay_alu instid0(VALU_DEP_1)
	s_and_b32 vcc_lo, exec_lo, s3
	s_cbranch_vccnz .LBB0_12
; %bb.11:
	v_cvt_f32_u32_e32 v1, s36
	s_sub_co_i32 s9, 0, s36
	s_mov_b32 s25, 0
	s_delay_alu instid0(VALU_DEP_1) | instskip(NEXT) | instid1(TRANS32_DEP_1)
	v_rcp_iflag_f32_e32 v1, v1
	v_mul_f32_e32 v1, 0x4f7ffffe, v1
	s_delay_alu instid0(VALU_DEP_1) | instskip(NEXT) | instid1(VALU_DEP_1)
	v_cvt_u32_f32_e32 v1, v1
	v_readfirstlane_b32 s3, v1
	s_wait_alu 0xfffe
	s_delay_alu instid0(VALU_DEP_1)
	s_mul_i32 s9, s9, s3
	s_wait_alu 0xfffe
	s_mul_hi_u32 s9, s3, s9
	s_wait_alu 0xfffe
	s_add_co_i32 s3, s3, s9
	s_wait_alu 0xfffe
	s_mul_hi_u32 s3, s34, s3
	s_wait_alu 0xfffe
	s_mul_i32 s9, s3, s36
	s_add_co_i32 s11, s3, 1
	s_wait_alu 0xfffe
	s_sub_co_i32 s9, s34, s9
	s_wait_alu 0xfffe
	s_sub_co_i32 s17, s9, s36
	s_cmp_ge_u32 s9, s36
	s_cselect_b32 s3, s11, s3
	s_cselect_b32 s9, s17, s9
	s_wait_alu 0xfffe
	s_add_co_i32 s11, s3, 1
	s_cmp_ge_u32 s9, s36
	s_cselect_b32 s24, s11, s3
.LBB0_12:
	v_mul_u32_u24_e32 v1, 0x1c72, v0
	s_lshl_b64 s[14:15], s[14:15], 3
	v_mov_b32_e32 v15, 0
	s_wait_alu 0xfffe
	s_add_nc_u64 s[20:21], s[22:23], s[14:15]
	s_add_nc_u64 s[22:23], s[38:39], 9
	v_lshrrev_b32_e32 v29, 16, v1
	s_load_b64 s[20:21], s[20:21], 0x0
	v_mov_b32_e32 v16, 0
	s_delay_alu instid0(VALU_DEP_2) | instskip(NEXT) | instid1(VALU_DEP_1)
	v_mul_lo_u16 v1, v29, 9
	v_sub_nc_u16 v1, v0, v1
	s_delay_alu instid0(VALU_DEP_1) | instskip(NEXT) | instid1(VALU_DEP_1)
	v_and_b32_e32 v43, 0xffff, v1
	v_mad_co_u64_u32 v[21:22], null, s18, v43, 0
	s_wait_kmcnt 0x0
	s_mul_u64 s[20:21], s[20:21], s[24:25]
	s_delay_alu instid0(VALU_DEP_1) | instskip(NEXT) | instid1(VALU_DEP_1)
	v_mov_b32_e32 v1, v22
	v_mad_co_u64_u32 v[1:2], null, s19, v43, v[1:2]
	v_mov_b32_e32 v2, 0
	v_add_co_u32 v41, s3, s38, v43
	s_wait_alu 0xf1ff
	v_add_co_ci_u32_e64 v42, null, s39, 0, s3
	v_cmp_le_u64_e64 s3, s[22:23], s[30:31]
	s_add_nc_u64 s[18:19], s[20:21], s[0:1]
	s_delay_alu instid0(VALU_DEP_2) | instskip(NEXT) | instid1(VALU_DEP_2)
	v_cmp_gt_u64_e32 vcc_lo, s[30:31], v[41:42]
	s_or_b32 s1, s3, vcc_lo
	s_delay_alu instid0(SALU_CYCLE_1)
	s_and_saveexec_b32 s9, s1
	s_cbranch_execz .LBB0_14
; %bb.13:
	v_mul_lo_u32 v1, s16, v29
	v_mov_b32_e32 v4, 0
	s_wait_alu 0xfffe
	s_delay_alu instid0(VALU_DEP_2) | instskip(NEXT) | instid1(VALU_DEP_1)
	v_add3_u32 v3, s18, v21, v1
	v_lshlrev_b64_e32 v[3:4], 3, v[3:4]
	s_delay_alu instid0(VALU_DEP_1) | instskip(NEXT) | instid1(VALU_DEP_1)
	v_add_co_u32 v3, s0, s4, v3
	v_add_co_ci_u32_e64 v4, s0, s5, v4, s0
	global_load_b64 v[15:16], v[3:4], off
.LBB0_14:
	s_wait_alu 0xfffe
	s_or_b32 exec_lo, exec_lo, s9
	v_mov_b32_e32 v1, 0
	s_and_saveexec_b32 s9, s1
	s_cbranch_execz .LBB0_16
; %bb.15:
	v_dual_mov_b32 v2, 0 :: v_dual_add_nc_u32 v1, 16, v29
	s_delay_alu instid0(VALU_DEP_1) | instskip(NEXT) | instid1(VALU_DEP_1)
	v_mul_lo_u32 v1, s16, v1
	v_add3_u32 v1, s18, v21, v1
	s_delay_alu instid0(VALU_DEP_1) | instskip(NEXT) | instid1(VALU_DEP_1)
	v_lshlrev_b64_e32 v[1:2], 3, v[1:2]
	v_add_co_u32 v1, s0, s4, v1
	s_wait_alu 0xf1ff
	s_delay_alu instid0(VALU_DEP_2)
	v_add_co_ci_u32_e64 v2, s0, s5, v2, s0
	global_load_b64 v[1:2], v[1:2], off
.LBB0_16:
	s_wait_alu 0xfffe
	s_or_b32 exec_lo, exec_lo, s9
	v_dual_mov_b32 v14, 0 :: v_dual_mov_b32 v19, 0
	v_mov_b32_e32 v20, 0
	s_and_saveexec_b32 s9, s1
	s_cbranch_execz .LBB0_18
; %bb.17:
	v_or_b32_e32 v3, 32, v29
	v_mov_b32_e32 v4, 0
	s_delay_alu instid0(VALU_DEP_2) | instskip(NEXT) | instid1(VALU_DEP_1)
	v_mul_lo_u32 v3, s16, v3
	v_add3_u32 v3, s18, v21, v3
	s_delay_alu instid0(VALU_DEP_1) | instskip(NEXT) | instid1(VALU_DEP_1)
	v_lshlrev_b64_e32 v[3:4], 3, v[3:4]
	v_add_co_u32 v3, s0, s4, v3
	s_wait_alu 0xf1ff
	s_delay_alu instid0(VALU_DEP_2)
	v_add_co_ci_u32_e64 v4, s0, s5, v4, s0
	global_load_b64 v[19:20], v[3:4], off
.LBB0_18:
	s_wait_alu 0xfffe
	s_or_b32 exec_lo, exec_lo, s9
	v_mov_b32_e32 v13, 0
	s_and_saveexec_b32 s9, s1
	s_cbranch_execz .LBB0_20
; %bb.19:
	v_dual_mov_b32 v4, 0 :: v_dual_add_nc_u32 v3, 48, v29
	s_delay_alu instid0(VALU_DEP_1) | instskip(NEXT) | instid1(VALU_DEP_1)
	v_mul_lo_u32 v3, s16, v3
	v_add3_u32 v3, s18, v21, v3
	s_delay_alu instid0(VALU_DEP_1) | instskip(NEXT) | instid1(VALU_DEP_1)
	v_lshlrev_b64_e32 v[3:4], 3, v[3:4]
	v_add_co_u32 v3, s0, s4, v3
	s_wait_alu 0xf1ff
	s_delay_alu instid0(VALU_DEP_2)
	v_add_co_ci_u32_e64 v4, s0, s5, v4, s0
	global_load_b64 v[13:14], v[3:4], off
.LBB0_20:
	s_wait_alu 0xfffe
	s_or_b32 exec_lo, exec_lo, s9
	v_dual_mov_b32 v8, 0 :: v_dual_mov_b32 v9, 0
	v_mov_b32_e32 v10, 0
	s_and_saveexec_b32 s9, s1
	s_cbranch_execz .LBB0_22
; %bb.21:
	v_or_b32_e32 v3, 64, v29
	v_mov_b32_e32 v4, 0
	s_delay_alu instid0(VALU_DEP_2) | instskip(NEXT) | instid1(VALU_DEP_1)
	v_mul_lo_u32 v3, s16, v3
	v_add3_u32 v3, s18, v21, v3
	s_delay_alu instid0(VALU_DEP_1) | instskip(NEXT) | instid1(VALU_DEP_1)
	v_lshlrev_b64_e32 v[3:4], 3, v[3:4]
	v_add_co_u32 v3, s0, s4, v3
	s_wait_alu 0xf1ff
	s_delay_alu instid0(VALU_DEP_2)
	v_add_co_ci_u32_e64 v4, s0, s5, v4, s0
	global_load_b64 v[9:10], v[3:4], off
.LBB0_22:
	;; [unrolled: 38-line block ×5, first 2 shown]
	s_wait_alu 0xfffe
	s_or_b32 exec_lo, exec_lo, s9
	v_mov_b32_e32 v24, 0
	s_and_saveexec_b32 s9, s1
	s_cbranch_execz .LBB0_36
; %bb.35:
	v_dual_mov_b32 v25, 0 :: v_dual_add_nc_u32 v24, 0xb0, v29
	s_delay_alu instid0(VALU_DEP_1) | instskip(NEXT) | instid1(VALU_DEP_1)
	v_mul_lo_u32 v24, s16, v24
	v_add3_u32 v24, s18, v21, v24
	s_delay_alu instid0(VALU_DEP_1) | instskip(NEXT) | instid1(VALU_DEP_1)
	v_lshlrev_b64_e32 v[24:25], 3, v[24:25]
	v_add_co_u32 v24, s0, s4, v24
	s_wait_alu 0xf1ff
	s_delay_alu instid0(VALU_DEP_2)
	v_add_co_ci_u32_e64 v25, s0, s5, v25, s0
	global_load_b64 v[24:25], v[24:25], off
.LBB0_36:
	s_wait_alu 0xfffe
	s_or_b32 exec_lo, exec_lo, s9
	v_dual_mov_b32 v27, 0 :: v_dual_mov_b32 v26, 0
	s_add_nc_u64 s[14:15], s[28:29], s[14:15]
	s_and_saveexec_b32 s9, s1
	s_cbranch_execz .LBB0_38
; %bb.37:
	v_or_b32_e32 v26, 0xc0, v29
	v_mov_b32_e32 v27, 0
	s_delay_alu instid0(VALU_DEP_2) | instskip(NEXT) | instid1(VALU_DEP_1)
	v_mul_lo_u32 v26, s16, v26
	v_add3_u32 v26, s18, v21, v26
	s_delay_alu instid0(VALU_DEP_1) | instskip(NEXT) | instid1(VALU_DEP_1)
	v_lshlrev_b64_e32 v[26:27], 3, v[26:27]
	v_add_co_u32 v26, s0, s4, v26
	s_wait_alu 0xf1ff
	s_delay_alu instid0(VALU_DEP_2)
	v_add_co_ci_u32_e64 v27, s0, s5, v27, s0
	global_load_b64 v[26:27], v[26:27], off
.LBB0_38:
	s_wait_alu 0xfffe
	s_or_b32 exec_lo, exec_lo, s9
	s_wait_loadcnt 0x0
	v_dual_add_f32 v21, v15, v1 :: v_dual_add_f32 v28, v16, v2
	v_dual_add_f32 v30, v1, v26 :: v_dual_add_f32 v31, v2, v27
	v_dual_sub_f32 v32, v1, v26 :: v_dual_sub_f32 v33, v2, v27
	s_delay_alu instid0(VALU_DEP_3) | instskip(SKIP_2) | instid1(VALU_DEP_2)
	v_dual_add_f32 v21, v21, v19 :: v_dual_add_f32 v28, v28, v20
	s_load_b64 s[4:5], s[14:15], 0x0
	s_mov_b32 s1, exec_lo
	v_mul_f32_e32 v35, 0xbf52af12, v32
	s_delay_alu instid0(VALU_DEP_2) | instskip(SKIP_3) | instid1(VALU_DEP_4)
	v_dual_add_f32 v1, v21, v13 :: v_dual_add_f32 v2, v28, v14
	v_mul_f32_e32 v28, 0xbeedf032, v32
	v_mul_f32_e32 v49, 0xbf29c268, v32
	v_add_f32_e32 v53, v19, v24
	v_dual_add_f32 v1, v1, v9 :: v_dual_mul_f32 v34, 0x3f116cb1, v30
	v_add_f32_e32 v2, v2, v10
	v_mul_f32_e32 v21, 0x3f62ad3f, v30
	v_fmamk_f32 v51, v31, 0xbf3f9e67, v49
	s_delay_alu instid0(VALU_DEP_4) | instskip(NEXT) | instid1(VALU_DEP_4)
	v_dual_add_f32 v1, v1, v7 :: v_dual_mul_f32 v36, 0x3df6dbef, v30
	v_add_f32_e32 v2, v2, v8
	v_mul_f32_e32 v37, 0xbf7e222b, v32
	s_delay_alu instid0(VALU_DEP_4) | instskip(NEXT) | instid1(VALU_DEP_4)
	v_add_f32_e32 v51, v16, v51
	v_dual_add_f32 v1, v1, v5 :: v_dual_mul_f32 v38, 0xbeb58ec6, v30
	s_delay_alu instid0(VALU_DEP_4) | instskip(SKIP_1) | instid1(VALU_DEP_3)
	v_dual_add_f32 v2, v2, v6 :: v_dual_fmamk_f32 v39, v33, 0x3eedf032, v21
	v_fma_f32 v49, 0xbf3f9e67, v31, -v49
	v_dual_add_f32 v1, v1, v3 :: v_dual_fmamk_f32 v40, v31, 0x3f62ad3f, v28
	s_delay_alu instid0(VALU_DEP_3) | instskip(NEXT) | instid1(VALU_DEP_4)
	v_dual_add_f32 v2, v2, v4 :: v_dual_fmac_f32 v21, 0xbeedf032, v33
	v_dual_fmamk_f32 v42, v33, 0x3f52af12, v34 :: v_dual_add_f32 v39, v15, v39
	s_delay_alu instid0(VALU_DEP_3) | instskip(NEXT) | instid1(VALU_DEP_3)
	v_dual_add_f32 v1, v1, v11 :: v_dual_fmamk_f32 v44, v31, 0x3f116cb1, v35
	v_dual_add_f32 v2, v2, v12 :: v_dual_fmamk_f32 v45, v33, 0x3f7e222b, v36
	v_fma_f32 v28, 0x3f62ad3f, v31, -v28
	s_delay_alu instid0(VALU_DEP_3) | instskip(SKIP_1) | instid1(VALU_DEP_4)
	v_add_f32_e32 v1, v1, v17
	v_fmac_f32_e32 v34, 0xbf52af12, v33
	v_dual_add_f32 v2, v2, v18 :: v_dual_add_f32 v45, v15, v45
	v_add_f32_e32 v42, v15, v42
	s_delay_alu instid0(VALU_DEP_4) | instskip(NEXT) | instid1(VALU_DEP_3)
	v_dual_add_f32 v1, v1, v22 :: v_dual_fmamk_f32 v46, v31, 0x3df6dbef, v37
	v_add_f32_e32 v2, v2, v23
	v_add_f32_e32 v34, v15, v34
	v_fma_f32 v35, 0x3f116cb1, v31, -v35
	s_delay_alu instid0(VALU_DEP_4)
	v_add_f32_e32 v1, v1, v24
	v_add_f32_e32 v28, v16, v28
	;; [unrolled: 1-line block ×4, first 2 shown]
	v_sub_f32_e32 v55, v20, v25
	v_add_f32_e32 v1, v1, v26
	v_fma_f32 v26, 0x3df6dbef, v31, -v37
	v_dual_mul_f32 v37, 0xbf6f5d39, v32 :: v_dual_add_f32 v2, v2, v27
	v_fmamk_f32 v27, v33, 0x3f6f5d39, v38
	v_fmac_f32_e32 v38, 0xbf6f5d39, v33
	s_delay_alu instid0(VALU_DEP_3) | instskip(SKIP_3) | instid1(VALU_DEP_3)
	v_dual_add_f32 v26, v16, v26 :: v_dual_fmamk_f32 v47, v31, 0xbeb58ec6, v37
	v_fma_f32 v37, 0xbeb58ec6, v31, -v37
	v_mul_f32_e32 v48, 0xbf3f9e67, v30
	v_dual_add_f32 v44, v16, v44 :: v_dual_add_f32 v27, v15, v27
	v_dual_add_f32 v38, v15, v38 :: v_dual_add_f32 v37, v16, v37
	s_delay_alu instid0(VALU_DEP_3)
	v_dual_fmamk_f32 v50, v33, 0x3f29c268, v48 :: v_dual_add_f32 v49, v16, v49
	v_dual_mul_f32 v30, 0xbf788fa5, v30 :: v_dual_sub_f32 v19, v19, v24
	v_mul_f32_e32 v32, 0xbe750f2a, v32
	v_mul_f32_e32 v56, 0x3f116cb1, v53
	v_dual_fmac_f32 v36, 0xbf7e222b, v33 :: v_dual_add_f32 v35, v16, v35
	v_dual_add_f32 v40, v16, v40 :: v_dual_add_f32 v21, v15, v21
	v_add_f32_e32 v50, v15, v50
	v_fmamk_f32 v54, v31, 0xbf788fa5, v32
	v_fma_f32 v24, 0xbf788fa5, v31, -v32
	v_dual_add_f32 v20, v20, v25 :: v_dual_fmamk_f32 v25, v55, 0x3f52af12, v56
	v_mul_f32_e32 v31, 0xbf52af12, v19
	v_fmac_f32_e32 v56, 0xbf52af12, v55
	v_fmamk_f32 v52, v33, 0x3e750f2a, v30
	v_fmac_f32_e32 v30, 0xbe750f2a, v33
	v_fmac_f32_e32 v48, 0xbf29c268, v33
	v_dual_add_f32 v36, v15, v36 :: v_dual_add_f32 v47, v16, v47
	v_add_f32_e32 v32, v16, v54
	v_add_f32_e32 v16, v16, v24
	s_delay_alu instid0(VALU_DEP_4) | instskip(SKIP_3) | instid1(VALU_DEP_3)
	v_dual_add_f32 v48, v15, v48 :: v_dual_mul_f32 v33, 0xbf6f5d39, v19
	v_dual_add_f32 v24, v25, v39 :: v_dual_fmamk_f32 v25, v20, 0x3f116cb1, v31
	v_fma_f32 v31, 0x3f116cb1, v20, -v31
	v_dual_add_f32 v21, v56, v21 :: v_dual_add_f32 v52, v15, v52
	v_dual_mul_f32 v54, 0x3f29c268, v19 :: v_dual_add_f32 v25, v25, v40
	s_delay_alu instid0(VALU_DEP_3) | instskip(SKIP_1) | instid1(VALU_DEP_2)
	v_dual_add_f32 v28, v31, v28 :: v_dual_fmamk_f32 v31, v20, 0xbeb58ec6, v33
	v_fma_f32 v33, 0xbeb58ec6, v20, -v33
	v_dual_mul_f32 v40, 0xbf788fa5, v53 :: v_dual_add_f32 v31, v31, v44
	s_delay_alu instid0(VALU_DEP_2) | instskip(SKIP_2) | instid1(VALU_DEP_2)
	v_add_f32_e32 v33, v33, v35
	v_dual_add_f32 v15, v15, v30 :: v_dual_mul_f32 v30, 0xbeb58ec6, v53
	v_mul_f32_e32 v44, 0xbe750f2a, v19
	v_fmamk_f32 v39, v55, 0x3f6f5d39, v30
	s_delay_alu instid0(VALU_DEP_1) | instskip(SKIP_2) | instid1(VALU_DEP_3)
	v_dual_fmac_f32 v30, 0xbf6f5d39, v55 :: v_dual_add_f32 v39, v39, v42
	v_fmamk_f32 v42, v55, 0x3e750f2a, v40
	v_fmac_f32_e32 v40, 0xbe750f2a, v55
	v_add_f32_e32 v30, v30, v34
	v_mul_f32_e32 v34, 0xbf3f9e67, v53
	s_delay_alu instid0(VALU_DEP_4) | instskip(SKIP_3) | instid1(VALU_DEP_3)
	v_dual_add_f32 v35, v42, v45 :: v_dual_fmamk_f32 v42, v20, 0xbf788fa5, v44
	v_fma_f32 v44, 0xbf788fa5, v20, -v44
	v_add_f32_e32 v36, v40, v36
	v_fmamk_f32 v40, v20, 0xbf3f9e67, v54
	v_dual_fmamk_f32 v45, v55, 0xbf29c268, v34 :: v_dual_add_f32 v26, v44, v26
	v_mul_f32_e32 v44, 0x3df6dbef, v53
	v_add_f32_e32 v42, v42, v46
	v_fma_f32 v46, 0xbf3f9e67, v20, -v54
	v_add_f32_e32 v40, v40, v47
	v_add_f32_e32 v27, v45, v27
	v_fmamk_f32 v47, v55, 0xbf7e222b, v44
	s_delay_alu instid0(VALU_DEP_4) | instskip(SKIP_3) | instid1(VALU_DEP_4)
	v_dual_fmac_f32 v44, 0x3f7e222b, v55 :: v_dual_add_f32 v37, v46, v37
	v_mul_f32_e32 v46, 0x3f62ad3f, v53
	v_fmac_f32_e32 v34, 0x3f29c268, v55
	v_mul_f32_e32 v45, 0x3f7e222b, v19
	v_dual_add_f32 v47, v47, v50 :: v_dual_add_f32 v44, v44, v48
	s_delay_alu instid0(VALU_DEP_4) | instskip(SKIP_4) | instid1(VALU_DEP_3)
	v_fmamk_f32 v50, v55, 0xbeedf032, v46
	v_add_f32_e32 v48, v13, v22
	v_fmac_f32_e32 v46, 0x3eedf032, v55
	v_mul_f32_e32 v19, 0x3eedf032, v19
	v_sub_f32_e32 v13, v13, v22
	v_dual_add_f32 v15, v46, v15 :: v_dual_mul_f32 v46, 0xbeb58ec6, v48
	v_add_f32_e32 v34, v34, v38
	v_fmamk_f32 v38, v20, 0x3df6dbef, v45
	v_fma_f32 v45, 0x3df6dbef, v20, -v45
	s_delay_alu instid0(VALU_DEP_1) | instskip(SKIP_4) | instid1(VALU_DEP_4)
	v_dual_add_f32 v38, v38, v51 :: v_dual_add_f32 v45, v45, v49
	v_dual_add_f32 v49, v50, v52 :: v_dual_fmamk_f32 v50, v20, 0x3f62ad3f, v19
	v_dual_sub_f32 v51, v14, v23 :: v_dual_mul_f32 v52, 0x3df6dbef, v48
	v_fma_f32 v19, 0x3f62ad3f, v20, -v19
	v_add_f32_e32 v14, v14, v23
	v_dual_add_f32 v23, v50, v32 :: v_dual_mul_f32 v32, 0xbe750f2a, v13
	s_delay_alu instid0(VALU_DEP_4) | instskip(NEXT) | instid1(VALU_DEP_4)
	v_fmamk_f32 v20, v51, 0x3f7e222b, v52
	v_add_f32_e32 v16, v19, v16
	v_mul_f32_e32 v22, 0xbf7e222b, v13
	s_delay_alu instid0(VALU_DEP_3) | instskip(NEXT) | instid1(VALU_DEP_2)
	v_dual_mul_f32 v50, 0x3eedf032, v13 :: v_dual_add_f32 v19, v20, v24
	v_fmamk_f32 v20, v14, 0x3df6dbef, v22
	v_fma_f32 v22, 0x3df6dbef, v14, -v22
	s_delay_alu instid0(VALU_DEP_2) | instskip(NEXT) | instid1(VALU_DEP_2)
	v_add_f32_e32 v20, v20, v25
	v_add_f32_e32 v22, v22, v28
	v_fmamk_f32 v28, v14, 0xbf788fa5, v32
	v_mul_f32_e32 v24, 0xbf788fa5, v48
	v_fma_f32 v32, 0xbf788fa5, v14, -v32
	s_delay_alu instid0(VALU_DEP_3) | instskip(SKIP_1) | instid1(VALU_DEP_4)
	v_dual_add_f32 v28, v28, v31 :: v_dual_fmamk_f32 v31, v51, 0xbf6f5d39, v46
	v_fmac_f32_e32 v46, 0x3f6f5d39, v51
	v_fmamk_f32 v25, v51, 0x3e750f2a, v24
	s_delay_alu instid0(VALU_DEP_2) | instskip(SKIP_1) | instid1(VALU_DEP_3)
	v_dual_add_f32 v31, v31, v35 :: v_dual_add_f32 v36, v46, v36
	v_fmac_f32_e32 v24, 0xbe750f2a, v51
	v_add_f32_e32 v25, v25, v39
	s_delay_alu instid0(VALU_DEP_2) | instskip(SKIP_2) | instid1(VALU_DEP_3)
	v_dual_mul_f32 v39, 0x3f6f5d39, v13 :: v_dual_add_f32 v24, v24, v30
	v_add_f32_e32 v30, v32, v33
	v_mul_f32_e32 v32, 0x3f62ad3f, v48
	v_fmamk_f32 v33, v14, 0xbeb58ec6, v39
	v_fma_f32 v35, 0xbeb58ec6, v14, -v39
	s_delay_alu instid0(VALU_DEP_3) | instskip(NEXT) | instid1(VALU_DEP_3)
	v_fmamk_f32 v39, v51, 0xbeedf032, v32
	v_add_f32_e32 v33, v33, v42
	s_delay_alu instid0(VALU_DEP_3) | instskip(SKIP_1) | instid1(VALU_DEP_4)
	v_add_f32_e32 v26, v35, v26
	v_fmac_f32_e32 v32, 0x3eedf032, v51
	v_add_f32_e32 v27, v39, v27
	v_mul_f32_e32 v39, 0x3f116cb1, v48
	v_fmamk_f32 v35, v14, 0x3f62ad3f, v50
	v_fma_f32 v46, 0x3f62ad3f, v14, -v50
	s_delay_alu instid0(VALU_DEP_2) | instskip(NEXT) | instid1(VALU_DEP_4)
	v_add_f32_e32 v35, v35, v40
	v_fmamk_f32 v40, v51, 0x3f52af12, v39
	v_fmac_f32_e32 v39, 0xbf52af12, v51
	s_delay_alu instid0(VALU_DEP_4) | instskip(NEXT) | instid1(VALU_DEP_2)
	v_dual_add_f32 v37, v46, v37 :: v_dual_mul_f32 v46, 0xbf3f9e67, v48
	v_dual_add_f32 v40, v40, v47 :: v_dual_add_f32 v39, v39, v44
	v_dual_mul_f32 v42, 0xbf52af12, v13 :: v_dual_sub_f32 v47, v10, v18
	v_dual_add_f32 v32, v32, v34 :: v_dual_mul_f32 v13, 0xbf29c268, v13
	v_add_f32_e32 v44, v9, v17
	s_delay_alu instid0(VALU_DEP_3) | instskip(SKIP_1) | instid1(VALU_DEP_3)
	v_dual_fmamk_f32 v34, v14, 0x3f116cb1, v42 :: v_dual_sub_f32 v9, v9, v17
	v_add_f32_e32 v10, v10, v18
	v_mul_f32_e32 v48, 0xbeb58ec6, v44
	s_delay_alu instid0(VALU_DEP_3) | instskip(SKIP_2) | instid1(VALU_DEP_2)
	v_add_f32_e32 v34, v34, v38
	v_fma_f32 v38, 0x3f116cb1, v14, -v42
	v_mul_f32_e32 v17, 0xbf6f5d39, v9
	v_add_f32_e32 v38, v38, v45
	v_fmamk_f32 v45, v14, 0xbf3f9e67, v13
	v_fma_f32 v13, 0xbf3f9e67, v14, -v13
	s_delay_alu instid0(VALU_DEP_1) | instskip(SKIP_1) | instid1(VALU_DEP_1)
	v_dual_add_f32 v13, v13, v16 :: v_dual_fmamk_f32 v16, v10, 0xbeb58ec6, v17
	v_fma_f32 v17, 0xbeb58ec6, v10, -v17
	v_dual_add_f32 v16, v16, v20 :: v_dual_add_f32 v17, v17, v22
	v_dual_add_f32 v18, v45, v23 :: v_dual_mul_f32 v23, 0x3f29c268, v9
	v_mul_f32_e32 v45, 0x3f62ad3f, v44
	s_delay_alu instid0(VALU_DEP_2) | instskip(SKIP_1) | instid1(VALU_DEP_1)
	v_fmamk_f32 v22, v10, 0xbf3f9e67, v23
	v_fma_f32 v23, 0xbf3f9e67, v10, -v23
	v_dual_add_f32 v22, v22, v28 :: v_dual_add_f32 v23, v23, v30
	v_fmamk_f32 v14, v47, 0x3f6f5d39, v48
	v_mul_f32_e32 v28, 0x3eedf032, v9
	s_delay_alu instid0(VALU_DEP_2) | instskip(NEXT) | instid1(VALU_DEP_2)
	v_dual_add_f32 v14, v14, v19 :: v_dual_mul_f32 v19, 0xbf3f9e67, v44
	v_fmamk_f32 v30, v10, 0x3f62ad3f, v28
	v_fma_f32 v28, 0x3f62ad3f, v10, -v28
	s_delay_alu instid0(VALU_DEP_3)
	v_fmamk_f32 v20, v47, 0xbf29c268, v19
	v_fmac_f32_e32 v19, 0x3f29c268, v47
	v_fmac_f32_e32 v52, 0xbf7e222b, v51
	v_add_f32_e32 v30, v30, v33
	v_add_f32_e32 v26, v28, v26
	v_dual_add_f32 v20, v20, v25 :: v_dual_fmamk_f32 v25, v47, 0xbeedf032, v45
	v_add_f32_e32 v19, v19, v24
	v_mul_f32_e32 v24, 0x3df6dbef, v44
	v_fmac_f32_e32 v45, 0x3eedf032, v47
	v_add_f32_e32 v21, v52, v21
	v_add_f32_e32 v25, v25, v31
	s_delay_alu instid0(VALU_DEP_4) | instskip(NEXT) | instid1(VALU_DEP_4)
	v_fmamk_f32 v31, v47, 0x3f7e222b, v24
	v_dual_add_f32 v33, v45, v36 :: v_dual_fmac_f32 v24, 0xbf7e222b, v47
	s_delay_alu instid0(VALU_DEP_2) | instskip(SKIP_1) | instid1(VALU_DEP_3)
	v_dual_mul_f32 v36, 0x3e750f2a, v9 :: v_dual_add_f32 v27, v31, v27
	v_mul_f32_e32 v31, 0xbf788fa5, v44
	v_add_f32_e32 v24, v24, v32
	s_delay_alu instid0(VALU_DEP_3) | instskip(SKIP_1) | instid1(VALU_DEP_2)
	v_fmamk_f32 v32, v10, 0xbf788fa5, v36
	v_mul_f32_e32 v44, 0x3f116cb1, v44
	v_add_f32_e32 v32, v32, v34
	v_fma_f32 v34, 0xbf788fa5, v10, -v36
	s_delay_alu instid0(VALU_DEP_3) | instskip(SKIP_3) | instid1(VALU_DEP_1)
	v_fmamk_f32 v36, v47, 0xbf52af12, v44
	v_fmac_f32_e32 v44, 0x3f52af12, v47
	v_fmamk_f32 v42, v51, 0x3f29c268, v46
	v_fmac_f32_e32 v46, 0xbf29c268, v51
	v_dual_add_f32 v15, v46, v15 :: v_dual_mul_f32 v46, 0xbf7e222b, v9
	v_mul_f32_e32 v9, 0x3f52af12, v9
	s_delay_alu instid0(VALU_DEP_2) | instskip(NEXT) | instid1(VALU_DEP_1)
	v_dual_add_f32 v15, v44, v15 :: v_dual_fmamk_f32 v28, v10, 0x3df6dbef, v46
	v_dual_add_f32 v28, v28, v35 :: v_dual_fmamk_f32 v35, v47, 0xbe750f2a, v31
	v_fmac_f32_e32 v31, 0x3e750f2a, v47
	s_delay_alu instid0(VALU_DEP_2) | instskip(NEXT) | instid1(VALU_DEP_2)
	v_add_f32_e32 v35, v35, v40
	v_add_f32_e32 v31, v31, v39
	;; [unrolled: 1-line block ×3, first 2 shown]
	v_dual_sub_f32 v7, v7, v11 :: v_dual_add_f32 v42, v42, v49
	v_sub_f32_e32 v40, v8, v12
	v_add_f32_e32 v34, v34, v38
	v_fmamk_f32 v38, v10, 0x3f116cb1, v9
	v_fma_f32 v9, 0x3f116cb1, v10, -v9
	v_dual_add_f32 v8, v8, v12 :: v_dual_mul_f32 v11, 0xbf29c268, v7
	v_add_f32_e32 v36, v36, v42
	s_delay_alu instid0(VALU_DEP_3) | instskip(NEXT) | instid1(VALU_DEP_3)
	v_dual_mul_f32 v42, 0xbf3f9e67, v39 :: v_dual_add_f32 v9, v9, v13
	v_fmamk_f32 v13, v8, 0xbf3f9e67, v11
	v_fma_f32 v11, 0xbf3f9e67, v8, -v11
	v_fma_f32 v45, 0x3df6dbef, v10, -v46
	s_delay_alu instid0(VALU_DEP_4)
	v_fmamk_f32 v10, v40, 0x3f29c268, v42
	v_fmac_f32_e32 v42, 0xbf29c268, v40
	v_add_f32_e32 v13, v13, v16
	v_dual_add_f32 v11, v11, v17 :: v_dual_add_f32 v12, v38, v18
	v_mul_f32_e32 v18, 0x3f7e222b, v7
	v_dual_mul_f32 v38, 0x3f116cb1, v39 :: v_dual_add_f32 v37, v45, v37
	s_delay_alu instid0(VALU_DEP_2) | instskip(SKIP_2) | instid1(VALU_DEP_2)
	v_dual_fmamk_f32 v17, v8, 0x3df6dbef, v18 :: v_dual_add_f32 v10, v10, v14
	v_mul_f32_e32 v14, 0x3df6dbef, v39
	v_fma_f32 v18, 0x3df6dbef, v8, -v18
	v_fmamk_f32 v16, v40, 0xbf7e222b, v14
	v_fmac_f32_e32 v14, 0x3f7e222b, v40
	s_delay_alu instid0(VALU_DEP_2)
	v_add_f32_e32 v16, v16, v20
	v_dual_add_f32 v20, v17, v22 :: v_dual_fmamk_f32 v17, v40, 0x3f52af12, v38
	v_fmac_f32_e32 v38, 0xbf52af12, v40
	v_fmac_f32_e32 v48, 0xbf6f5d39, v47
	v_mul_f32_e32 v22, 0xbf52af12, v7
	v_add_f32_e32 v14, v14, v19
	v_add_f32_e32 v19, v18, v23
	;; [unrolled: 1-line block ×3, first 2 shown]
	v_dual_add_f32 v21, v48, v21 :: v_dual_mul_f32 v18, 0xbf788fa5, v39
	v_add_f32_e32 v23, v17, v25
	v_fmamk_f32 v17, v8, 0x3f116cb1, v22
	v_fma_f32 v22, 0x3f116cb1, v8, -v22
	s_delay_alu instid0(VALU_DEP_4) | instskip(SKIP_2) | instid1(VALU_DEP_3)
	v_dual_add_f32 v21, v42, v21 :: v_dual_mul_f32 v42, 0x3e750f2a, v7
	v_fmamk_f32 v25, v40, 0xbe750f2a, v18
	v_fmac_f32_e32 v18, 0x3e750f2a, v40
	v_fma_f32 v38, 0xbf788fa5, v8, -v42
	s_delay_alu instid0(VALU_DEP_3) | instskip(SKIP_2) | instid1(VALU_DEP_4)
	v_add_f32_e32 v25, v25, v27
	v_mul_f32_e32 v27, 0x3eedf032, v7
	v_dual_mul_f32 v7, 0xbf6f5d39, v7 :: v_dual_add_f32 v22, v22, v26
	v_dual_mul_f32 v26, 0x3f62ad3f, v39 :: v_dual_add_f32 v37, v38, v37
	v_dual_mul_f32 v38, 0xbeb58ec6, v39 :: v_dual_sub_f32 v39, v6, v4
	v_dual_add_f32 v30, v17, v30 :: v_dual_fmamk_f32 v17, v8, 0xbf788fa5, v42
	v_sub_f32_e32 v42, v5, v3
	s_delay_alu instid0(VALU_DEP_2) | instskip(NEXT) | instid1(VALU_DEP_1)
	v_dual_add_f32 v28, v17, v28 :: v_dual_fmamk_f32 v17, v40, 0xbeedf032, v26
	v_dual_fmac_f32 v26, 0x3eedf032, v40 :: v_dual_add_f32 v35, v17, v35
	v_fma_f32 v17, 0x3f62ad3f, v8, -v27
	s_delay_alu instid0(VALU_DEP_2) | instskip(SKIP_4) | instid1(VALU_DEP_4)
	v_add_f32_e32 v26, v26, v31
	v_add_f32_e32 v31, v5, v3
	v_fma_f32 v3, 0xbeb58ec6, v8, -v7
	v_mul_f32_e32 v5, 0xbe750f2a, v42
	v_dual_add_f32 v34, v17, v34 :: v_dual_fmamk_f32 v17, v8, 0xbeb58ec6, v7
	v_dual_mul_f32 v7, 0x3f62ad3f, v31 :: v_dual_add_f32 v24, v18, v24
	s_delay_alu instid0(VALU_DEP_4) | instskip(NEXT) | instid1(VALU_DEP_3)
	v_dual_fmamk_f32 v18, v8, 0x3f62ad3f, v27 :: v_dual_add_f32 v45, v3, v9
	v_add_f32_e32 v44, v17, v12
	s_delay_alu instid0(VALU_DEP_3) | instskip(NEXT) | instid1(VALU_DEP_3)
	v_fmamk_f32 v8, v39, 0xbeedf032, v7
	v_dual_fmac_f32 v7, 0x3eedf032, v39 :: v_dual_add_f32 v32, v18, v32
	v_fmamk_f32 v18, v40, 0x3f6f5d39, v38
	v_fmac_f32_e32 v38, 0xbf6f5d39, v40
	v_add_f32_e32 v40, v6, v4
	v_mul_f32_e32 v6, 0x3eedf032, v42
	v_mul_f32_e32 v12, 0x3f116cb1, v31
	v_add_f32_e32 v36, v18, v36
	v_mul_f32_e32 v18, 0xbf788fa5, v31
	s_delay_alu instid0(VALU_DEP_4) | instskip(SKIP_1) | instid1(VALU_DEP_3)
	v_dual_add_f32 v38, v38, v15 :: v_dual_fmamk_f32 v9, v40, 0x3f62ad3f, v6
	v_add_f32_e32 v15, v7, v14
	v_fmamk_f32 v4, v39, 0x3e750f2a, v18
	s_delay_alu instid0(VALU_DEP_1) | instskip(SKIP_2) | instid1(VALU_DEP_3)
	v_dual_fmac_f32 v18, 0xbe750f2a, v39 :: v_dual_add_f32 v3, v4, v10
	v_fmamk_f32 v4, v40, 0xbf788fa5, v5
	v_fma_f32 v5, 0xbf788fa5, v40, -v5
	v_dual_mul_f32 v10, 0xbf3f9e67, v31 :: v_dual_add_f32 v17, v18, v21
	s_delay_alu instid0(VALU_DEP_3) | instskip(NEXT) | instid1(VALU_DEP_3)
	v_dual_mul_f32 v21, 0xbf6f5d39, v42 :: v_dual_add_f32 v4, v4, v13
	v_dual_add_f32 v18, v5, v11 :: v_dual_add_f32 v5, v8, v16
	v_fma_f32 v8, 0x3f62ad3f, v40, -v6
	s_delay_alu instid0(VALU_DEP_4) | instskip(SKIP_1) | instid1(VALU_DEP_3)
	v_dual_add_f32 v6, v9, v20 :: v_dual_fmamk_f32 v9, v39, 0x3f29c268, v10
	v_dual_mul_f32 v11, 0xbf29c268, v42 :: v_dual_fmac_f32 v10, 0xbf29c268, v39
	v_dual_add_f32 v16, v8, v19 :: v_dual_mul_f32 v19, 0x3f52af12, v42
	s_delay_alu instid0(VALU_DEP_2)
	v_dual_add_f32 v7, v9, v23 :: v_dual_fmamk_f32 v8, v40, 0xbf3f9e67, v11
	v_fma_f32 v9, 0xbf3f9e67, v40, -v11
	v_fmamk_f32 v11, v39, 0xbf52af12, v12
	v_dual_mul_f32 v20, 0xbeb58ec6, v31 :: v_dual_add_f32 v13, v10, v33
	v_fmamk_f32 v10, v40, 0x3f116cb1, v19
	v_fmac_f32_e32 v12, 0x3f52af12, v39
	v_dual_mul_f32 v23, 0x3df6dbef, v31 :: v_dual_add_f32 v14, v9, v22
	v_add_f32_e32 v9, v11, v25
	v_fma_f32 v11, 0x3f116cb1, v40, -v19
	v_fmamk_f32 v19, v39, 0x3f6f5d39, v20
	v_fmac_f32_e32 v20, 0xbf6f5d39, v39
	v_mul_f32_e32 v22, 0x3f7e222b, v42
	v_add_f32_e32 v10, v10, v28
	v_add_f32_e32 v27, v12, v24
	v_fmamk_f32 v12, v40, 0xbeb58ec6, v21
	v_add_f32_e32 v28, v11, v37
	v_add_f32_e32 v11, v19, v35
	;; [unrolled: 1-line block ×3, first 2 shown]
	v_fma_f32 v20, 0xbeb58ec6, v40, -v21
	v_fmamk_f32 v21, v39, 0xbf7e222b, v23
	v_mad_u32_u24 v19, 0x3a8, v29, 0
	v_fmamk_f32 v24, v40, 0x3df6dbef, v22
	v_fmac_f32_e32 v23, 0x3f7e222b, v39
	v_fma_f32 v26, 0x3df6dbef, v40, -v22
	v_add_f32_e32 v8, v8, v30
	v_add_f32_e32 v12, v12, v32
	;; [unrolled: 1-line block ×3, first 2 shown]
	v_lshl_add_u32 v30, v43, 3, v19
	v_dual_add_f32 v22, v24, v44 :: v_dual_add_f32 v23, v23, v38
	v_add_f32_e32 v24, v26, v45
	v_add_f32_e32 v26, v20, v34
	ds_store_2addr_b64 v30, v[1:2], v[3:4] offset1:9
	ds_store_2addr_b64 v30, v[5:6], v[7:8] offset0:18 offset1:27
	ds_store_2addr_b64 v30, v[9:10], v[11:12] offset0:36 offset1:45
	;; [unrolled: 1-line block ×5, first 2 shown]
	ds_store_b64 v30, v[17:18] offset:864
	global_wb scope:SCOPE_SE
	s_wait_dscnt 0x0
	s_wait_kmcnt 0x0
	s_barrier_signal -1
	s_barrier_wait -1
	global_inv scope:SCOPE_SE
                                        ; implicit-def: $vgpr38
	v_cmpx_gt_u32_e32 0x75, v0
	s_cbranch_execz .LBB0_40
; %bb.39:
	v_mul_i32_i24_e32 v1, 0xfffffca0, v29
	v_lshlrev_b32_e32 v2, 3, v43
	s_delay_alu instid0(VALU_DEP_1) | instskip(NEXT) | instid1(VALU_DEP_1)
	v_add3_u32 v5, v19, v1, v2
	v_add_nc_u32_e32 v6, 0x400, v5
	v_add_nc_u32_e32 v9, 0xc00, v5
	;; [unrolled: 1-line block ×6, first 2 shown]
	ds_load_2addr_b64 v[1:4], v5 offset1:117
	v_add_nc_u32_e32 v30, 0x3000, v5
	ds_load_2addr_b64 v[5:8], v6 offset0:106 offset1:223
	ds_load_2addr_b64 v[9:12], v9 offset0:84 offset1:201
	;; [unrolled: 1-line block ×7, first 2 shown]
.LBB0_40:
	s_wait_alu 0xfffe
	s_or_b32 exec_lo, exec_lo, s1
	v_cmp_gt_u32_e64 s1, 0x75, v0
	v_cmp_lt_u32_e64 s0, 0x74, v0
	v_cndmask_b32_e64 v31, 0, 1, vcc_lo
	s_wait_alu 0xf1ff
	s_delay_alu instid0(VALU_DEP_3) | instskip(NEXT) | instid1(VALU_DEP_3)
	v_cndmask_b32_e64 v30, 0, 1, s1
	s_or_b32 vcc_lo, s0, s3
	s_mov_b32 s0, exec_lo
	s_wait_alu 0xfffe
	s_delay_alu instid0(VALU_DEP_1) | instskip(NEXT) | instid1(VALU_DEP_1)
	v_cndmask_b32_e32 v30, v31, v30, vcc_lo
	v_and_b32_e32 v30, 1, v30
	s_delay_alu instid0(VALU_DEP_1)
	v_cmpx_eq_u32_e32 1, v30
	s_cbranch_execz .LBB0_42
; %bb.41:
	v_mul_lo_u16 v30, v29, 20
	s_mul_i32 s0, s4, s24
	s_wait_alu 0xfffe
	s_add_co_i32 s0, s0, s2
	s_delay_alu instid0(VALU_DEP_1) | instskip(NEXT) | instid1(VALU_DEP_1)
	v_lshrrev_b16 v30, 8, v30
	v_mul_lo_u16 v30, v30, 13
	s_delay_alu instid0(VALU_DEP_1) | instskip(NEXT) | instid1(VALU_DEP_1)
	v_sub_nc_u16 v29, v29, v30
	v_and_b32_e32 v42, 0xff, v29
	s_delay_alu instid0(VALU_DEP_1) | instskip(NEXT) | instid1(VALU_DEP_1)
	v_mul_u32_u24_e32 v29, 15, v42
	v_lshlrev_b32_e32 v60, 3, v29
	s_clause 0x6
	global_load_b64 v[64:65], v60, s[26:27] offset:112
	global_load_b128 v[44:47], v60, s[26:27] offset:96
	global_load_b128 v[48:51], v60, s[26:27] offset:80
	;; [unrolled: 1-line block ×6, first 2 shown]
	s_wait_loadcnt_dscnt 0x600
	v_mul_f32_e32 v86, v39, v65
	s_wait_loadcnt 0x5
	v_mul_f32_e32 v88, v37, v47
	v_dual_mul_f32 v47, v38, v47 :: v_dual_add_nc_u32 v80, 0x8f, v42
	v_add_nc_u32_e32 v61, 0xc3, v42
	v_dual_fmac_f32 v86, v40, v64 :: v_dual_add_nc_u32 v67, 0xb6, v42
	v_dual_mul_f32 v65, v40, v65 :: v_dual_add_nc_u32 v68, 0xa9, v42
	s_delay_alu instid0(VALU_DEP_4) | instskip(NEXT) | instid1(VALU_DEP_4)
	v_mul_lo_u32 v82, v41, v80
	v_mul_lo_u32 v66, v41, v61
	v_add_nc_u32_e32 v87, 0x82, v42
	v_dual_mul_f32 v89, v19, v45 :: v_dual_add_nc_u32 v70, 0x9c, v42
	v_mul_lo_u32 v67, v41, v67
	v_mul_lo_u32 v71, v41, v68
	v_fma_f32 v64, v39, v64, -v65
	s_wait_loadcnt 0x4
	v_dual_mul_f32 v90, v17, v51 :: v_dual_and_b32 v83, 0xff, v82
	v_mul_lo_u32 v65, v41, v87
	v_fma_f32 v87, v37, v46, -v47
	s_delay_alu instid0(VALU_DEP_3)
	v_dual_mul_f32 v92, v15, v49 :: v_dual_lshlrev_b32 v83, 3, v83
	v_add_nc_u32_e32 v37, 0x5b, v42
	v_and_b32_e32 v69, 0xff, v66
	v_lshrrev_b32_e32 v66, 5, v66
	v_add_nc_u32_e32 v39, 0x75, v42
	v_fmac_f32_e32 v89, v20, v44
	global_load_b128 v[60:63], v60, s[26:27]
	v_add_nc_u32_e32 v40, 0x68, v42
	v_fmac_f32_e32 v92, v16, v48
	v_mul_lo_u32 v37, v41, v37
	v_and_b32_e32 v72, 0xff, v67
	v_dual_fmac_f32 v88, v38, v46 :: v_dual_and_b32 v75, 0xff, v71
	v_mul_lo_u32 v38, v41, v39
	v_mul_lo_u32 v39, v41, v40
	v_mul_f32_e32 v40, v20, v45
	v_lshlrev_b32_e32 v68, 3, v69
	v_dual_mul_f32 v20, v18, v51 :: v_dual_and_b32 v69, 0x7f8, v66
	v_lshrrev_b32_e32 v46, 5, v65
	v_lshrrev_b32_e32 v73, 5, v67
	;; [unrolled: 1-line block ×3, first 2 shown]
	v_mul_lo_u32 v74, v41, v70
	v_dual_fmac_f32 v90, v18, v50 :: v_dual_lshlrev_b32 v75, 3, v75
	v_fma_f32 v91, v17, v50, -v20
	v_and_b32_e32 v17, 0xff, v37
	v_lshrrev_b32_e32 v20, 5, v37
	s_wait_loadcnt 0x4
	v_dual_mul_f32 v46, v14, v55 :: v_dual_and_b32 v37, 0x7f8, v46
	v_dual_mul_f32 v55, v13, v55 :: v_dual_lshlrev_b32 v70, 3, v72
	v_and_b32_e32 v72, 0x7f8, v73
	v_and_b32_e32 v76, 0x7f8, v76
	s_clause 0x1
	global_load_b64 v[66:67], v68, s[12:13]
	global_load_b64 v[68:69], v69, s[12:13] offset:2048
	v_and_b32_e32 v78, 0xff, v74
	v_lshrrev_b32_e32 v79, 5, v74
	v_fmac_f32_e32 v55, v14, v54
	s_clause 0x3
	global_load_b64 v[70:71], v70, s[12:13]
	global_load_b64 v[72:73], v72, s[12:13] offset:2048
	global_load_b64 v[74:75], v75, s[12:13]
	global_load_b64 v[76:77], v76, s[12:13] offset:2048
	v_lshlrev_b32_e32 v78, 3, v78
	v_and_b32_e32 v81, 0x7f8, v79
	v_and_b32_e32 v45, 0xff, v65
	v_fma_f32 v65, v19, v44, -v40
	v_mul_f32_e32 v44, v16, v49
	s_clause 0x1
	global_load_b64 v[78:79], v78, s[12:13]
	global_load_b64 v[80:81], v81, s[12:13] offset:2048
	v_lshrrev_b32_e32 v82, 5, v82
	s_wait_loadcnt 0xa
	v_dual_mul_f32 v95, v11, v34 :: v_dual_and_b32 v40, 0xff, v39
	v_fma_f32 v94, v13, v54, -v46
	v_mul_f32_e32 v54, v25, v59
	v_and_b32_e32 v84, 0x7f8, v82
	v_lshlrev_b32_e32 v18, 3, v45
	v_fmac_f32_e32 v95, v12, v33
	s_clause 0x1
	global_load_b64 v[82:83], v83, s[12:13]
	global_load_b64 v[84:85], v84, s[12:13] offset:2048
	v_dual_mul_f32 v46, v26, v59 :: v_dual_and_b32 v19, 0xff, v38
	v_fma_f32 v93, v15, v48, -v44
	v_dual_fmac_f32 v54, v26, v58 :: v_dual_lshlrev_b32 v45, 3, v17
	s_clause 0x1
	global_load_b64 v[15:16], v18, s[12:13]
	global_load_b64 v[17:18], v37, s[12:13] offset:2048
	v_mul_f32_e32 v37, v28, v53
	v_mul_f32_e32 v53, v27, v53
	v_lshrrev_b32_e32 v38, 5, v38
	v_lshrrev_b32_e32 v39, 5, v39
	v_lshlrev_b32_e32 v19, 3, v19
	v_fma_f32 v59, v27, v52, -v37
	v_fmac_f32_e32 v53, v28, v52
	v_fma_f32 v52, v25, v58, -v46
	v_mul_f32_e32 v58, v23, v57
	v_and_b32_e32 v38, 0x7f8, v38
	v_and_b32_e32 v44, 0x7f8, v20
	v_lshlrev_b32_e32 v40, 3, v40
	s_delay_alu instid0(VALU_DEP_4)
	v_dual_fmac_f32 v58, v24, v56 :: v_dual_and_b32 v39, 0x7f8, v39
	s_clause 0x5
	global_load_b64 v[13:14], v19, s[12:13]
	global_load_b64 v[19:20], v38, s[12:13] offset:2048
	global_load_b64 v[27:28], v40, s[12:13]
	global_load_b64 v[37:38], v39, s[12:13] offset:2048
	;; [unrolled: 2-line block ×3, first 2 shown]
	v_dual_mul_f32 v44, v24, v57 :: v_dual_mul_f32 v57, v21, v36
	v_add_nc_u32_e32 v24, 0x4e, v42
	s_wait_loadcnt 0x13
	v_mul_f32_e32 v98, v9, v32
	v_mul_f32_e32 v100, v7, v30
	v_fma_f32 v56, v23, v56, -v44
	v_dual_mul_f32 v23, v22, v36 :: v_dual_add_nc_u32 v36, 0x41, v42
	s_delay_alu instid0(VALU_DEP_4) | instskip(SKIP_1) | instid1(VALU_DEP_3)
	v_fmac_f32_e32 v98, v10, v31
	v_dual_fmac_f32 v57, v22, v35 :: v_dual_add_nc_u32 v22, 52, v42
	v_fma_f32 v96, v21, v35, -v23
	v_mul_f32_e32 v21, v12, v34
	v_mul_lo_u32 v12, v41, v24
	v_add_nc_u32_e32 v23, 39, v42
	v_add_nc_u32_e32 v34, 26, v42
	v_mul_f32_e32 v24, v10, v32
	v_fma_f32 v97, v11, v33, -v21
	v_mul_lo_u32 v21, v41, v36
	v_add_nc_u32_e32 v11, 13, v42
	v_mul_lo_u32 v33, v41, v34
	v_fma_f32 v99, v9, v31, -v24
	v_mul_f32_e32 v10, v8, v30
	v_mul_lo_u32 v23, v41, v23
	v_mul_lo_u32 v34, v41, v11
	v_and_b32_e32 v11, 0xff, v12
	v_and_b32_e32 v9, 0xff, v21
	v_lshrrev_b32_e32 v12, 5, v12
	v_lshrrev_b32_e32 v21, 5, v21
	v_fma_f32 v101, v7, v29, -v10
	v_dual_fmac_f32 v100, v8, v29 :: v_dual_and_b32 v29, 0xff, v23
	v_lshlrev_b32_e32 v7, 3, v11
	v_and_b32_e32 v10, 0x7f8, v12
	v_and_b32_e32 v12, 0x7f8, v21
	v_lshrrev_b32_e32 v44, 5, v34
	v_and_b32_e32 v0, 0xffff, v0
	v_dual_sub_f32 v52, v1, v52 :: v_dual_lshlrev_b32 v9, 3, v9
	v_sub_f32_e32 v64, v56, v64
	v_sub_f32_e32 v54, v2, v54
	s_delay_alu instid0(VALU_DEP_3) | instskip(NEXT) | instid1(VALU_DEP_3)
	v_fma_f32 v1, v1, 2.0, -v52
	v_fma_f32 v56, v56, 2.0, -v64
	s_delay_alu instid0(VALU_DEP_3)
	v_fma_f32 v2, v2, 2.0, -v54
	s_wait_loadcnt 0x12
	v_mul_f32_e32 v8, v6, v63
	v_mul_f32_e32 v63, v5, v63
	;; [unrolled: 1-line block ×4, first 2 shown]
	s_delay_alu instid0(VALU_DEP_4) | instskip(NEXT) | instid1(VALU_DEP_4)
	v_fma_f32 v102, v5, v62, -v8
	v_fmac_f32_e32 v63, v6, v62
	s_delay_alu instid0(VALU_DEP_4) | instskip(NEXT) | instid1(VALU_DEP_4)
	v_fma_f32 v62, v3, v60, -v11
	v_fmac_f32_e32 v61, v4, v60
	v_lshrrev_b32_e32 v3, 5, v23
	s_delay_alu instid0(VALU_DEP_4) | instskip(NEXT) | instid1(VALU_DEP_3)
	v_sub_f32_e32 v55, v63, v55
	v_sub_f32_e32 v53, v61, v53
	s_delay_alu instid0(VALU_DEP_3) | instskip(NEXT) | instid1(VALU_DEP_3)
	v_and_b32_e32 v3, 0x7f8, v3
	v_fma_f32 v63, v63, 2.0, -v55
	s_delay_alu instid0(VALU_DEP_3)
	v_fma_f32 v61, v61, 2.0, -v53
	s_wait_loadcnt 0x10
	v_mul_f32_e32 v21, v67, v69
	v_mul_f32_e32 v60, v66, v69
	v_lshlrev_b32_e32 v29, 3, v29
	s_wait_loadcnt 0xe
	v_mul_f32_e32 v30, v71, v73
	s_wait_loadcnt 0xc
	v_dual_mul_f32 v69, v74, v77 :: v_dual_fmac_f32 v60, v67, v68
	s_clause 0x1
	global_load_b64 v[5:6], v7, s[12:13]
	global_load_b64 v[7:8], v10, s[12:13] offset:2048
	v_mul_f32_e32 v67, v70, v73
	v_mul_lo_u32 v22, v41, v22
	v_fmac_f32_e32 v69, v75, v76
	s_clause 0x1
	global_load_b64 v[9:10], v9, s[12:13]
	global_load_b64 v[11:12], v12, s[12:13] offset:2048
	v_mul_f32_e32 v35, v75, v77
	v_fma_f32 v66, v66, v68, -v21
	v_fma_f32 v68, v70, v72, -v30
	v_fmac_f32_e32 v67, v71, v72
	s_wait_loadcnt 0xe
	v_dual_mul_f32 v71, v78, v81 :: v_dual_and_b32 v24, 0xff, v22
	v_lshrrev_b32_e32 v22, 5, v22
	v_and_b32_e32 v4, 0xff, v33
	v_lshrrev_b32_e32 v33, 5, v33
	s_delay_alu instid0(VALU_DEP_4)
	v_fmac_f32_e32 v71, v79, v80
	v_lshlrev_b32_e32 v23, 3, v24
	v_and_b32_e32 v24, 0x7f8, v22
	s_clause 0x3
	global_load_b64 v[21:22], v23, s[12:13]
	global_load_b64 v[23:24], v24, s[12:13] offset:2048
	global_load_b64 v[29:30], v29, s[12:13]
	global_load_b64 v[31:32], v3, s[12:13] offset:2048
	v_dual_mul_f32 v34, v79, v81 :: v_dual_and_b32 v3, 0xff, v34
	v_lshlrev_b32_e32 v4, 3, v4
	v_fma_f32 v70, v74, v76, -v35
	v_and_b32_e32 v35, 0x7f8, v33
	s_delay_alu instid0(VALU_DEP_4)
	v_dual_sub_f32 v74, v100, v92 :: v_dual_lshlrev_b32 v3, 3, v3
	v_fma_f32 v72, v78, v80, -v34
	s_clause 0x1
	global_load_b64 v[33:34], v4, s[12:13]
	global_load_b64 v[35:36], v35, s[12:13] offset:2048
	v_and_b32_e32 v4, 0x7f8, v44
	s_clause 0x1
	global_load_b64 v[44:45], v3, s[12:13]
	global_load_b64 v[46:47], v4, s[12:13] offset:2048
	v_mul_lo_u32 v3, v41, v42
	s_wait_loadcnt 0x14
	v_mul_f32_e32 v41, v82, v85
	v_sub_f32_e32 v73, v58, v86
	v_mul_u32_u24_e32 v0, 0x231, v0
	s_wait_loadcnt 0x12
	v_dual_mul_f32 v4, v83, v85 :: v_dual_mul_f32 v79, v16, v18
	v_fmac_f32_e32 v41, v83, v84
	v_dual_sub_f32 v75, v102, v94 :: v_dual_sub_f32 v76, v57, v88
	v_and_b32_e32 v48, 0xff, v3
	v_lshrrev_b32_e32 v3, 5, v3
	v_lshrrev_b32_e32 v0, 16, v0
	v_fma_f32 v4, v82, v84, -v4
	s_delay_alu instid0(VALU_DEP_4) | instskip(NEXT) | instid1(VALU_DEP_4)
	v_dual_sub_f32 v77, v99, v91 :: v_dual_lshlrev_b32 v48, 3, v48
	v_and_b32_e32 v3, 0x7f8, v3
	s_clause 0x1
	global_load_b64 v[48:49], v48, s[12:13]
	global_load_b64 v[50:51], v3, s[12:13] offset:2048
	v_mul_lo_u16 v0, 0xd0, v0
	v_sub_f32_e32 v78, v96, v87
	v_mul_f32_e32 v80, v15, v18
	v_sub_f32_e32 v18, v97, v65
	s_wait_loadcnt 0xe
	v_mul_f32_e32 v82, v26, v40
	v_and_b32_e32 v3, 0xffff, v0
	v_mul_lo_u32 v0, s10, v43
	v_sub_f32_e32 v43, v95, v89
	v_fma_f32 v79, v15, v17, -v79
	v_mul_f32_e32 v15, v14, v20
	v_or_b32_e32 v3, v42, v3
	v_dual_sub_f32 v42, v62, v59 :: v_dual_sub_f32 v59, v101, v93
	v_dual_sub_f32 v65, v98, v90 :: v_dual_fmac_f32 v80, v16, v17
	v_dual_mul_f32 v81, v13, v20 :: v_dual_mul_f32 v16, v28, v38
	s_delay_alu instid0(VALU_DEP_3)
	v_dual_mul_f32 v17, v27, v38 :: v_dual_sub_f32 v38, v42, v43
	v_mul_f32_e32 v83, v25, v40
	v_fma_f32 v20, v95, 2.0, -v43
	v_fma_f32 v40, v58, 2.0, -v73
	v_dual_sub_f32 v43, v59, v73 :: v_dual_add_f32 v58, v74, v64
	v_fma_f32 v57, v57, 2.0, -v76
	v_sub_f32_e32 v64, v75, v76
	v_fma_f32 v73, v99, 2.0, -v77
	v_add_f32_e32 v76, v54, v77
	v_fma_f32 v77, v96, 2.0, -v78
	v_dual_add_f32 v78, v55, v78 :: v_dual_fmac_f32 v81, v14, v19
	v_fma_f32 v84, v97, 2.0, -v18
	v_dual_add_f32 v18, v53, v18 :: v_dual_fmac_f32 v17, v28, v37
	v_fma_f32 v85, v98, 2.0, -v65
	v_sub_f32_e32 v65, v52, v65
	v_fma_f32 v62, v62, 2.0, -v42
	v_fma_f32 v86, v100, 2.0, -v74
	;; [unrolled: 1-line block ×4, first 2 shown]
	v_fma_f32 v89, v13, v19, -v15
	v_fma_f32 v90, v27, v37, -v16
	s_delay_alu instid0(VALU_DEP_4) | instskip(SKIP_3) | instid1(VALU_DEP_3)
	v_dual_fmac_f32 v83, v26, v39 :: v_dual_sub_f32 v28, v87, v77
	v_dual_fmamk_f32 v13, v43, 0x3f3504f3, v38 :: v_dual_sub_f32 v16, v62, v84
	v_dual_fmamk_f32 v15, v78, 0x3f3504f3, v76 :: v_dual_sub_f32 v20, v61, v20
	v_dual_fmamk_f32 v14, v58, 0x3f3504f3, v18 :: v_dual_fmamk_f32 v19, v64, 0x3f3504f3, v65
	v_dual_sub_f32 v26, v86, v40 :: v_dual_fmac_f32 v13, 0xbf3504f3, v58
	s_delay_alu instid0(VALU_DEP_2)
	v_dual_sub_f32 v27, v2, v85 :: v_dual_fmac_f32 v14, 0x3f3504f3, v43
	v_dual_sub_f32 v37, v88, v56 :: v_dual_sub_f32 v40, v1, v73
	v_dual_sub_f32 v56, v63, v57 :: v_dual_fmac_f32 v15, 0x3f3504f3, v64
	v_fma_f32 v42, v42, 2.0, -v38
	v_fma_f32 v57, v59, 2.0, -v43
	;; [unrolled: 1-line block ×8, first 2 shown]
	v_dual_fmac_f32 v19, 0xbf3504f3, v78 :: v_dual_add_f32 v58, v27, v28
	s_delay_alu instid0(VALU_DEP_3) | instskip(SKIP_4) | instid1(VALU_DEP_4)
	v_dual_sub_f32 v43, v16, v26 :: v_dual_fmamk_f32 v78, v59, 0xbf3504f3, v53
	v_dual_add_f32 v64, v20, v37 :: v_dual_fmamk_f32 v75, v57, 0xbf3504f3, v42
	v_dual_sub_f32 v74, v40, v56 :: v_dual_fmamk_f32 v77, v55, 0xbf3504f3, v54
	v_fmamk_f32 v84, v73, 0xbf3504f3, v52
	v_fma_f32 v2, v2, 2.0, -v27
	v_fmac_f32_e32 v75, 0xbf3504f3, v59
	v_fma_f32 v56, v63, 2.0, -v56
	v_fma_f32 v62, v62, 2.0, -v16
	;; [unrolled: 1-line block ×7, first 2 shown]
	v_fmamk_f32 v63, v14, 0x3f6c835e, v15
	v_dual_fmamk_f32 v86, v64, 0x3f3504f3, v58 :: v_dual_fmac_f32 v77, 0x3f3504f3, v73
	s_delay_alu instid0(VALU_DEP_3)
	v_dual_fmamk_f32 v87, v43, 0x3f3504f3, v74 :: v_dual_sub_f32 v26, v61, v26
	v_fmac_f32_e32 v78, 0x3f3504f3, v57
	v_dual_fmac_f32 v84, 0xbf3504f3, v55 :: v_dual_sub_f32 v37, v62, v37
	v_sub_f32_e32 v55, v2, v56
	v_fmamk_f32 v85, v13, 0x3f6c835e, v19
	v_sub_f32_e32 v28, v1, v28
	v_fma_f32 v38, v38, 2.0, -v13
	v_fma_f32 v56, v76, 2.0, -v15
	v_add_f32_e32 v88, v55, v37
	v_fma_f32 v18, v18, 2.0, -v14
	v_fma_f32 v57, v65, 2.0, -v19
	;; [unrolled: 1-line block ×6, first 2 shown]
	v_dual_fmac_f32 v63, 0x3ec3ef15, v13 :: v_dual_fmamk_f32 v76, v75, 0x3ec3ef15, v84
	v_dual_fmac_f32 v85, 0xbec3ef15, v14 :: v_dual_fmamk_f32 v92, v18, 0xbec3ef15, v56
	v_dual_fmac_f32 v86, 0x3f3504f3, v43 :: v_dual_sub_f32 v91, v28, v26
	v_fmac_f32_e32 v87, 0xbf3504f3, v64
	v_fmamk_f32 v64, v78, 0x3ec3ef15, v77
	v_fma_f32 v40, v42, 2.0, -v75
	v_fma_f32 v52, v52, 2.0, -v84
	v_fmamk_f32 v93, v38, 0xbec3ef15, v57
	v_dual_fmamk_f32 v94, v20, 0xbf3504f3, v65 :: v_dual_mul_f32 v27, v86, v67
	v_fma_f32 v54, v54, 2.0, -v77
	v_fma_f32 v42, v53, 2.0, -v78
	;; [unrolled: 1-line block ×4, first 2 shown]
	v_fmamk_f32 v95, v59, 0xbf3504f3, v73
	v_fma_f32 v61, v1, 2.0, -v28
	v_fma_f32 v1, v62, 2.0, -v37
	v_mul_f32_e32 v2, v85, v60
	v_sub_f32_e32 v62, v53, v13
	v_dual_mul_f32 v26, v63, v60 :: v_dual_fmac_f32 v93, 0xbf6c835e, v18
	v_mul_f32_e32 v37, v88, v71
	v_fmac_f32_e32 v64, 0x3f6c835e, v75
	v_fmamk_f32 v60, v40, 0xbf6c835e, v52
	v_mul_f32_e32 v16, v91, v71
	v_dual_mul_f32 v14, v87, v67 :: v_dual_fmac_f32 v95, 0xbf3504f3, v20
	v_dual_fmac_f32 v92, 0x3f6c835e, v38 :: v_dual_sub_f32 v67, v61, v1
	v_fmac_f32_e32 v76, 0xbf6c835e, v78
	v_fma_f32 v75, v19, 2.0, -v85
	v_dual_mul_f32 v19, v64, v69 :: v_dual_fmac_f32 v60, 0xbec3ef15, v42
	v_fmac_f32_e32 v94, 0x3f3504f3, v59
	s_delay_alu instid0(VALU_DEP_4) | instskip(SKIP_3) | instid1(VALU_DEP_4)
	v_dual_fmamk_f32 v59, v42, 0xbf6c835e, v54 :: v_dual_mul_f32 v18, v76, v69
	v_fma_f32 v71, v15, 2.0, -v63
	v_fmac_f32_e32 v2, v63, v66
	v_fma_f32 v1, v85, v66, -v26
	v_fmac_f32_e32 v59, 0x3ec3ef15, v40
	v_fma_f32 v13, v87, v68, -v27
	v_dual_mul_f32 v20, v93, v41 :: v_dual_mul_f32 v43, v75, v83
	v_dual_mul_f32 v27, v95, v80 :: v_dual_mul_f32 v26, v92, v41
	v_mul_f32_e32 v38, v67, v17
	v_fma_f32 v58, v58, 2.0, -v86
	s_delay_alu instid0(VALU_DEP_4)
	v_fmac_f32_e32 v20, v92, v4
	v_fma_f32 v63, v74, 2.0, -v87
	v_mul_f32_e32 v42, v62, v17
	v_fma_f32 v17, v76, v70, -v19
	v_fma_f32 v19, v93, v4, -v26
	;; [unrolled: 1-line block ×3, first 2 shown]
	v_fmac_f32_e32 v18, v64, v70
	s_wait_loadcnt 0xa
	v_mul_f32_e32 v66, v9, v12
	s_delay_alu instid0(VALU_DEP_1) | instskip(SKIP_1) | instid1(VALU_DEP_1)
	v_fmac_f32_e32 v66, v10, v11
	v_mul_f32_e32 v4, v59, v81
	v_fma_f32 v40, v60, v89, -v4
	v_fma_f32 v4, v25, v39, -v82
	v_mul_f32_e32 v39, v5, v8
	v_mul_f32_e32 v41, v60, v81
	;; [unrolled: 1-line block ×3, first 2 shown]
	v_dual_mul_f32 v25, v71, v83 :: v_dual_mul_f32 v8, v6, v8
	s_delay_alu instid0(VALU_DEP_4) | instskip(SKIP_1) | instid1(VALU_DEP_4)
	v_fmac_f32_e32 v39, v6, v7
	v_dual_fmac_f32 v38, v62, v90 :: v_dual_fmac_f32 v43, v71, v4
	v_fma_f32 v26, v95, v79, -v37
	s_delay_alu instid0(VALU_DEP_4)
	v_fma_f32 v6, v5, v7, -v8
	v_mul_f32_e32 v7, v10, v12
	v_fma_f32 v8, v84, 2.0, -v76
	v_mul_f32_e32 v5, v63, v39
	v_fma_f32 v37, v67, v90, -v42
	v_fma_f32 v42, v75, v4, -v25
	s_wait_loadcnt 0x6
	v_mul_f32_e32 v25, v29, v32
	v_fma_f32 v12, v77, 2.0, -v64
	v_fmac_f32_e32 v5, v58, v6
	v_dual_fmac_f32 v14, v86, v68 :: v_dual_fmac_f32 v41, v59, v89
	s_delay_alu instid0(VALU_DEP_4)
	v_fmac_f32_e32 v25, v30, v31
	v_mul_f32_e32 v10, v58, v39
	v_fma_f32 v39, v9, v11, -v7
	v_mul_f32_e32 v7, v8, v66
	v_mul_f32_e32 v9, v22, v24
	v_dual_fmac_f32 v16, v88, v72 :: v_dual_fmac_f32 v27, v94, v79
	v_fma_f32 v4, v63, v6, -v10
	s_delay_alu instid0(VALU_DEP_4)
	v_fmac_f32_e32 v7, v12, v39
	v_mul_f32_e32 v6, v12, v66
	v_fma_f32 v12, v55, 2.0, -v88
	v_mul_f32_e32 v10, v21, v24
	v_fma_f32 v24, v28, 2.0, -v91
	v_fma_f32 v21, v21, v23, -v9
	v_fma_f32 v6, v8, v39, -v6
	v_fma_f32 v39, v73, 2.0, -v95
	v_fmac_f32_e32 v10, v22, v23
	v_mul_f32_e32 v11, v30, v32
	v_fma_f32 v23, v57, 2.0, -v93
	v_fma_f32 v22, v56, 2.0, -v92
	;; [unrolled: 1-line block ×3, first 2 shown]
	v_mul_f32_e32 v9, v24, v10
	v_mul_f32_e32 v10, v12, v10
	v_fma_f32 v28, v29, v31, -v11
	v_mul_f32_e32 v11, v23, v25
	v_fma_f32 v29, v65, 2.0, -v94
	s_wait_loadcnt 0x4
	v_dual_fmac_f32 v9, v12, v21 :: v_dual_mul_f32 v12, v34, v36
	v_fma_f32 v8, v24, v21, -v10
	v_dual_mul_f32 v21, v33, v36 :: v_dual_mul_f32 v10, v22, v25
	s_wait_loadcnt 0x2
	v_mul_f32_e32 v25, v44, v47
	v_fma_f32 v12, v33, v35, -v12
	v_mul_lo_u32 v33, s8, v3
	v_dual_fmac_f32 v11, v22, v28 :: v_dual_mul_f32 v24, v45, v47
	s_delay_alu instid0(VALU_DEP_4)
	v_fmac_f32_e32 v25, v45, v46
	v_fmac_f32_e32 v21, v34, v35
	v_fma_f32 v31, v54, 2.0, -v59
	v_fma_f32 v10, v23, v28, -v10
	v_fma_f32 v32, v44, v46, -v24
	v_mul_f32_e32 v24, v25, v30
	v_mul_f32_e32 v22, v21, v39
	s_wait_alu 0xfffe
	v_add3_u32 v28, v0, v33, s0
	v_fma_f32 v35, v53, 2.0, -v62
	s_wait_loadcnt 0x0
	v_mul_f32_e32 v33, v48, v51
	v_fma_f32 v44, v61, 2.0, -v67
	v_fmac_f32_e32 v22, v12, v29
	v_dual_mul_f32 v21, v21, v29 :: v_dual_add_nc_u32 v34, 26, v3
	s_delay_alu instid0(VALU_DEP_4) | instskip(SKIP_2) | instid1(VALU_DEP_4)
	v_dual_fmac_f32 v24, v32, v31 :: v_dual_fmac_f32 v33, v50, v49
	v_mul_f32_e32 v25, v25, v31
	v_mov_b32_e32 v29, 0
	v_fma_f32 v21, v12, v39, -v21
	v_add_nc_u32_e32 v12, 0x41, v3
	v_mul_f32_e32 v46, v35, v33
	v_fma_f32 v23, v32, v30, -v25
	v_add_nc_u32_e32 v25, 13, v3
	v_lshlrev_b64_e32 v[30:31], 3, v[28:29]
	v_mul_f32_e32 v32, v49, v51
	v_mul_lo_u32 v12, s8, v12
	s_delay_alu instid0(VALU_DEP_4) | instskip(NEXT) | instid1(VALU_DEP_3)
	v_mul_lo_u32 v25, s8, v25
	v_fma_f32 v45, v48, v50, -v32
	v_mul_f32_e32 v32, v44, v33
	v_add_co_u32 v33, vcc_lo, s6, v30
	v_add_nc_u32_e32 v30, 39, v3
	v_add3_u32 v28, v0, v25, s0
	v_mul_lo_u32 v25, s8, v34
	v_fmac_f32_e32 v32, v35, v45
	s_wait_alu 0xfffd
	v_add_co_ci_u32_e32 v34, vcc_lo, s7, v31, vcc_lo
	v_lshlrev_b64_e32 v[35:36], 3, v[28:29]
	v_fma_f32 v31, v44, v45, -v46
	v_add3_u32 v28, v0, v25, s0
	v_mul_lo_u32 v25, s8, v30
	v_add_nc_u32_e32 v30, 52, v3
	v_add_co_u32 v35, vcc_lo, s6, v35
	s_delay_alu instid0(VALU_DEP_4)
	v_lshlrev_b64_e32 v[44:45], 3, v[28:29]
	s_wait_alu 0xfffd
	v_add_co_ci_u32_e32 v36, vcc_lo, s7, v36, vcc_lo
	v_mul_lo_u32 v30, s8, v30
	v_add3_u32 v28, v0, v25, s0
	s_clause 0x1
	global_store_b64 v[33:34], v[31:32], off
	global_store_b64 v[35:36], v[23:24], off
	v_add_nc_u32_e32 v25, 0x4e, v3
	v_lshlrev_b64_e32 v[23:24], 3, v[28:29]
	v_add3_u32 v28, v0, v30, s0
	v_add_co_u32 v30, vcc_lo, s6, v44
	s_wait_alu 0xfffd
	v_add_co_ci_u32_e32 v31, vcc_lo, s7, v45, vcc_lo
	s_delay_alu instid0(VALU_DEP_3) | instskip(SKIP_4) | instid1(VALU_DEP_4)
	v_lshlrev_b64_e32 v[32:33], 3, v[28:29]
	v_add3_u32 v28, v0, v12, s0
	v_mul_lo_u32 v12, s8, v25
	v_add_nc_u32_e32 v25, 0x5b, v3
	v_add_co_u32 v23, vcc_lo, s6, v23
	v_lshlrev_b64_e32 v[34:35], 3, v[28:29]
	s_wait_alu 0xfffd
	v_add_co_ci_u32_e32 v24, vcc_lo, s7, v24, vcc_lo
	v_mul_lo_u32 v25, s8, v25
	v_add3_u32 v28, v0, v12, s0
	v_add_nc_u32_e32 v12, 0x68, v3
	v_add_co_u32 v32, vcc_lo, s6, v32
	s_wait_alu 0xfffd
	v_add_co_ci_u32_e32 v33, vcc_lo, s7, v33, vcc_lo
	s_delay_alu instid0(VALU_DEP_3)
	v_mul_lo_u32 v12, s8, v12
	s_clause 0x2
	global_store_b64 v[30:31], v[21:22], off
	global_store_b64 v[23:24], v[10:11], off
	;; [unrolled: 1-line block ×3, first 2 shown]
	v_lshlrev_b64_e32 v[8:9], 3, v[28:29]
	v_add3_u32 v28, v0, v25, s0
	v_add_nc_u32_e32 v23, 0x75, v3
	v_add_co_u32 v10, vcc_lo, s6, v34
	s_wait_alu 0xfffd
	v_add_co_ci_u32_e32 v11, vcc_lo, s7, v35, vcc_lo
	v_lshlrev_b64_e32 v[21:22], 3, v[28:29]
	v_add3_u32 v28, v0, v12, s0
	v_mul_lo_u32 v12, s8, v23
	v_add_nc_u32_e32 v23, 0x82, v3
	v_add_co_u32 v8, vcc_lo, s6, v8
	global_store_b64 v[10:11], v[6:7], off
	v_add_nc_u32_e32 v6, 0x8f, v3
	v_mul_lo_u32 v25, s8, v23
	s_wait_alu 0xfffd
	v_add_co_ci_u32_e32 v9, vcc_lo, s7, v9, vcc_lo
	v_add_co_u32 v21, vcc_lo, s6, v21
	v_lshlrev_b64_e32 v[23:24], 3, v[28:29]
	v_add3_u32 v28, v0, v12, s0
	s_wait_alu 0xfffd
	v_add_co_ci_u32_e32 v22, vcc_lo, s7, v22, vcc_lo
	v_mul_lo_u32 v10, s8, v6
	s_clause 0x1
	global_store_b64 v[8:9], v[4:5], off
	global_store_b64 v[21:22], v[42:43], off
	v_lshlrev_b64_e32 v[4:5], 3, v[28:29]
	v_add3_u32 v28, v0, v25, s0
	v_add_nc_u32_e32 v11, 0x9c, v3
	v_add_co_u32 v6, vcc_lo, s6, v23
	s_wait_alu 0xfffd
	v_add_co_ci_u32_e32 v7, vcc_lo, s7, v24, vcc_lo
	v_lshlrev_b64_e32 v[8:9], 3, v[28:29]
	v_add3_u32 v28, v0, v10, s0
	v_mul_lo_u32 v12, s8, v11
	v_add_nc_u32_e32 v10, 0xa9, v3
	v_add_co_u32 v4, vcc_lo, s6, v4
	global_store_b64 v[6:7], v[37:38], off
	v_add_nc_u32_e32 v6, 0xb6, v3
	v_mul_lo_u32 v21, s8, v10
	s_wait_alu 0xfffd
	v_add_co_ci_u32_e32 v5, vcc_lo, s7, v5, vcc_lo
	v_add_co_u32 v8, vcc_lo, s6, v8
	v_lshlrev_b64_e32 v[10:11], 3, v[28:29]
	v_add3_u32 v28, v0, v12, s0
	s_wait_alu 0xfffd
	v_add_co_ci_u32_e32 v9, vcc_lo, s7, v9, vcc_lo
	v_mul_lo_u32 v12, s8, v6
	v_add_nc_u32_e32 v3, 0xc3, v3
	s_clause 0x1
	global_store_b64 v[4:5], v[40:41], off
	global_store_b64 v[8:9], v[26:27], off
	v_lshlrev_b64_e32 v[4:5], 3, v[28:29]
	v_add3_u32 v28, v0, v21, s0
	v_add_co_u32 v6, vcc_lo, s6, v10
	v_mul_lo_u32 v21, s8, v3
	s_wait_alu 0xfffd
	v_add_co_ci_u32_e32 v7, vcc_lo, s7, v11, vcc_lo
	v_lshlrev_b64_e32 v[8:9], 3, v[28:29]
	v_add3_u32 v28, v0, v12, s0
	v_add_co_u32 v3, vcc_lo, s6, v4
	s_wait_alu 0xfffd
	v_add_co_ci_u32_e32 v4, vcc_lo, s7, v5, vcc_lo
	s_delay_alu instid0(VALU_DEP_3) | instskip(SKIP_4) | instid1(VALU_DEP_3)
	v_lshlrev_b64_e32 v[10:11], 3, v[28:29]
	v_add3_u32 v28, v0, v21, s0
	v_add_co_u32 v8, vcc_lo, s6, v8
	s_wait_alu 0xfffd
	v_add_co_ci_u32_e32 v9, vcc_lo, s7, v9, vcc_lo
	v_lshlrev_b64_e32 v[21:22], 3, v[28:29]
	v_add_co_u32 v10, vcc_lo, s6, v10
	s_wait_alu 0xfffd
	v_add_co_ci_u32_e32 v11, vcc_lo, s7, v11, vcc_lo
	s_delay_alu instid0(VALU_DEP_3)
	v_add_co_u32 v21, vcc_lo, s6, v21
	s_wait_alu 0xfffd
	v_add_co_ci_u32_e32 v22, vcc_lo, s7, v22, vcc_lo
	s_clause 0x4
	global_store_b64 v[6:7], v[19:20], off
	global_store_b64 v[3:4], v[15:16], off
	;; [unrolled: 1-line block ×5, first 2 shown]
.LBB0_42:
	s_nop 0
	s_sendmsg sendmsg(MSG_DEALLOC_VGPRS)
	s_endpgm
	.section	.rodata,"a",@progbits
	.p2align	6, 0x0
	.amdhsa_kernel fft_rtc_fwd_len208_factors_13_16_wgs_144_tpt_16_sp_op_CI_CI_sbcc_twdbase8_2step_dirReg_intrinsicReadWrite
		.amdhsa_group_segment_fixed_size 0
		.amdhsa_private_segment_fixed_size 0
		.amdhsa_kernarg_size 112
		.amdhsa_user_sgpr_count 2
		.amdhsa_user_sgpr_dispatch_ptr 0
		.amdhsa_user_sgpr_queue_ptr 0
		.amdhsa_user_sgpr_kernarg_segment_ptr 1
		.amdhsa_user_sgpr_dispatch_id 0
		.amdhsa_user_sgpr_private_segment_size 0
		.amdhsa_wavefront_size32 1
		.amdhsa_uses_dynamic_stack 0
		.amdhsa_enable_private_segment 0
		.amdhsa_system_sgpr_workgroup_id_x 1
		.amdhsa_system_sgpr_workgroup_id_y 0
		.amdhsa_system_sgpr_workgroup_id_z 0
		.amdhsa_system_sgpr_workgroup_info 0
		.amdhsa_system_vgpr_workitem_id 0
		.amdhsa_next_free_vgpr 103
		.amdhsa_next_free_sgpr 62
		.amdhsa_reserve_vcc 1
		.amdhsa_float_round_mode_32 0
		.amdhsa_float_round_mode_16_64 0
		.amdhsa_float_denorm_mode_32 3
		.amdhsa_float_denorm_mode_16_64 3
		.amdhsa_fp16_overflow 0
		.amdhsa_workgroup_processor_mode 1
		.amdhsa_memory_ordered 1
		.amdhsa_forward_progress 0
		.amdhsa_round_robin_scheduling 0
		.amdhsa_exception_fp_ieee_invalid_op 0
		.amdhsa_exception_fp_denorm_src 0
		.amdhsa_exception_fp_ieee_div_zero 0
		.amdhsa_exception_fp_ieee_overflow 0
		.amdhsa_exception_fp_ieee_underflow 0
		.amdhsa_exception_fp_ieee_inexact 0
		.amdhsa_exception_int_div_zero 0
	.end_amdhsa_kernel
	.text
.Lfunc_end0:
	.size	fft_rtc_fwd_len208_factors_13_16_wgs_144_tpt_16_sp_op_CI_CI_sbcc_twdbase8_2step_dirReg_intrinsicReadWrite, .Lfunc_end0-fft_rtc_fwd_len208_factors_13_16_wgs_144_tpt_16_sp_op_CI_CI_sbcc_twdbase8_2step_dirReg_intrinsicReadWrite
                                        ; -- End function
	.section	.AMDGPU.csdata,"",@progbits
; Kernel info:
; codeLenInByte = 10612
; NumSgprs: 64
; NumVgprs: 103
; ScratchSize: 0
; MemoryBound: 0
; FloatMode: 240
; IeeeMode: 1
; LDSByteSize: 0 bytes/workgroup (compile time only)
; SGPRBlocks: 7
; VGPRBlocks: 12
; NumSGPRsForWavesPerEU: 64
; NumVGPRsForWavesPerEU: 103
; Occupancy: 12
; WaveLimiterHint : 1
; COMPUTE_PGM_RSRC2:SCRATCH_EN: 0
; COMPUTE_PGM_RSRC2:USER_SGPR: 2
; COMPUTE_PGM_RSRC2:TRAP_HANDLER: 0
; COMPUTE_PGM_RSRC2:TGID_X_EN: 1
; COMPUTE_PGM_RSRC2:TGID_Y_EN: 0
; COMPUTE_PGM_RSRC2:TGID_Z_EN: 0
; COMPUTE_PGM_RSRC2:TIDIG_COMP_CNT: 0
	.text
	.p2alignl 7, 3214868480
	.fill 96, 4, 3214868480
	.type	__hip_cuid_d71a7d7f3d82b0ab,@object ; @__hip_cuid_d71a7d7f3d82b0ab
	.section	.bss,"aw",@nobits
	.globl	__hip_cuid_d71a7d7f3d82b0ab
__hip_cuid_d71a7d7f3d82b0ab:
	.byte	0                               ; 0x0
	.size	__hip_cuid_d71a7d7f3d82b0ab, 1

	.ident	"AMD clang version 19.0.0git (https://github.com/RadeonOpenCompute/llvm-project roc-6.4.0 25133 c7fe45cf4b819c5991fe208aaa96edf142730f1d)"
	.section	".note.GNU-stack","",@progbits
	.addrsig
	.addrsig_sym __hip_cuid_d71a7d7f3d82b0ab
	.amdgpu_metadata
---
amdhsa.kernels:
  - .args:
      - .actual_access:  read_only
        .address_space:  global
        .offset:         0
        .size:           8
        .value_kind:     global_buffer
      - .address_space:  global
        .offset:         8
        .size:           8
        .value_kind:     global_buffer
      - .offset:         16
        .size:           8
        .value_kind:     by_value
      - .actual_access:  read_only
        .address_space:  global
        .offset:         24
        .size:           8
        .value_kind:     global_buffer
      - .actual_access:  read_only
        .address_space:  global
        .offset:         32
        .size:           8
        .value_kind:     global_buffer
      - .actual_access:  read_only
        .address_space:  global
        .offset:         40
        .size:           8
        .value_kind:     global_buffer
      - .offset:         48
        .size:           8
        .value_kind:     by_value
      - .actual_access:  read_only
        .address_space:  global
        .offset:         56
        .size:           8
        .value_kind:     global_buffer
      - .actual_access:  read_only
        .address_space:  global
        .offset:         64
        .size:           8
        .value_kind:     global_buffer
      - .offset:         72
        .size:           4
        .value_kind:     by_value
      - .actual_access:  read_only
        .address_space:  global
        .offset:         80
        .size:           8
        .value_kind:     global_buffer
      - .actual_access:  read_only
        .address_space:  global
        .offset:         88
        .size:           8
        .value_kind:     global_buffer
      - .actual_access:  read_only
        .address_space:  global
        .offset:         96
        .size:           8
        .value_kind:     global_buffer
      - .actual_access:  write_only
        .address_space:  global
        .offset:         104
        .size:           8
        .value_kind:     global_buffer
    .group_segment_fixed_size: 0
    .kernarg_segment_align: 8
    .kernarg_segment_size: 112
    .language:       OpenCL C
    .language_version:
      - 2
      - 0
    .max_flat_workgroup_size: 144
    .name:           fft_rtc_fwd_len208_factors_13_16_wgs_144_tpt_16_sp_op_CI_CI_sbcc_twdbase8_2step_dirReg_intrinsicReadWrite
    .private_segment_fixed_size: 0
    .sgpr_count:     64
    .sgpr_spill_count: 0
    .symbol:         fft_rtc_fwd_len208_factors_13_16_wgs_144_tpt_16_sp_op_CI_CI_sbcc_twdbase8_2step_dirReg_intrinsicReadWrite.kd
    .uniform_work_group_size: 1
    .uses_dynamic_stack: false
    .vgpr_count:     103
    .vgpr_spill_count: 0
    .wavefront_size: 32
    .workgroup_processor_mode: 1
amdhsa.target:   amdgcn-amd-amdhsa--gfx1201
amdhsa.version:
  - 1
  - 2
...

	.end_amdgpu_metadata
